;; amdgpu-corpus repo=ROCm/rocFFT kind=compiled arch=gfx950 opt=O3
	.text
	.amdgcn_target "amdgcn-amd-amdhsa--gfx950"
	.amdhsa_code_object_version 6
	.protected	fft_rtc_back_len374_factors_17_2_11_wgs_238_tpt_34_halfLds_dp_op_CI_CI_unitstride_sbrr_C2R_dirReg ; -- Begin function fft_rtc_back_len374_factors_17_2_11_wgs_238_tpt_34_halfLds_dp_op_CI_CI_unitstride_sbrr_C2R_dirReg
	.globl	fft_rtc_back_len374_factors_17_2_11_wgs_238_tpt_34_halfLds_dp_op_CI_CI_unitstride_sbrr_C2R_dirReg
	.p2align	8
	.type	fft_rtc_back_len374_factors_17_2_11_wgs_238_tpt_34_halfLds_dp_op_CI_CI_unitstride_sbrr_C2R_dirReg,@function
fft_rtc_back_len374_factors_17_2_11_wgs_238_tpt_34_halfLds_dp_op_CI_CI_unitstride_sbrr_C2R_dirReg: ; @fft_rtc_back_len374_factors_17_2_11_wgs_238_tpt_34_halfLds_dp_op_CI_CI_unitstride_sbrr_C2R_dirReg
; %bb.0:
	s_load_dwordx4 s[4:7], s[0:1], 0x58
	s_load_dwordx4 s[8:11], s[0:1], 0x0
	;; [unrolled: 1-line block ×3, first 2 shown]
	v_mul_u32_u24_e32 v1, 0x788, v0
	v_lshrrev_b32_e32 v2, 16, v1
	v_mad_u64_u32 v[4:5], s[2:3], s2, 7, v[2:3]
	v_mov_b32_e32 v6, 0
	v_mov_b32_e32 v5, v6
	s_waitcnt lgkmcnt(0)
	v_cmp_lt_u64_e64 s[2:3], s[10:11], 2
	v_mov_b64_e32 v[2:3], 0
	s_and_b64 vcc, exec, s[2:3]
	v_mov_b64_e32 v[120:121], v[2:3]
	v_mov_b64_e32 v[122:123], v[4:5]
	s_cbranch_vccnz .LBB0_8
; %bb.1:
	s_load_dwordx2 s[2:3], s[0:1], 0x10
	s_add_u32 s16, s14, 8
	s_addc_u32 s17, s15, 0
	s_add_u32 s18, s12, 8
	s_addc_u32 s19, s13, 0
	s_waitcnt lgkmcnt(0)
	s_add_u32 s20, s2, 8
	v_mov_b64_e32 v[2:3], 0
	s_addc_u32 s21, s3, 0
	s_mov_b64 s[22:23], 1
	v_mov_b64_e32 v[120:121], v[2:3]
	v_mov_b64_e32 v[8:9], v[4:5]
.LBB0_2:                                ; =>This Inner Loop Header: Depth=1
	s_load_dwordx2 s[24:25], s[20:21], 0x0
                                        ; implicit-def: $vgpr122_vgpr123
	s_waitcnt lgkmcnt(0)
	v_or_b32_e32 v7, s25, v9
	v_cmp_ne_u64_e32 vcc, 0, v[6:7]
	s_and_saveexec_b64 s[2:3], vcc
	s_xor_b64 s[26:27], exec, s[2:3]
	s_cbranch_execz .LBB0_4
; %bb.3:                                ;   in Loop: Header=BB0_2 Depth=1
	v_cvt_f32_u32_e32 v1, s24
	v_cvt_f32_u32_e32 v5, s25
	s_sub_u32 s2, 0, s24
	s_subb_u32 s3, 0, s25
	v_fmac_f32_e32 v1, 0x4f800000, v5
	v_rcp_f32_e32 v1, v1
	s_nop 0
	v_mul_f32_e32 v1, 0x5f7ffffc, v1
	v_mul_f32_e32 v5, 0x2f800000, v1
	v_trunc_f32_e32 v5, v5
	v_fmac_f32_e32 v1, 0xcf800000, v5
	v_cvt_u32_f32_e32 v5, v5
	v_cvt_u32_f32_e32 v1, v1
	v_mul_lo_u32 v7, s2, v5
	v_mul_hi_u32 v10, s2, v1
	v_mul_lo_u32 v11, s3, v1
	v_add_u32_e32 v7, v10, v7
	v_mul_lo_u32 v14, s2, v1
	v_add_u32_e32 v7, v7, v11
	v_mul_hi_u32 v10, v1, v14
	v_mul_hi_u32 v13, v1, v7
	v_mul_lo_u32 v12, v1, v7
	v_mov_b32_e32 v11, v6
	v_lshl_add_u64 v[10:11], v[10:11], 0, v[12:13]
	v_mul_hi_u32 v13, v5, v14
	v_mul_lo_u32 v14, v5, v14
	v_add_co_u32_e32 v10, vcc, v10, v14
	v_mul_hi_u32 v12, v5, v7
	s_nop 0
	v_addc_co_u32_e32 v10, vcc, v11, v13, vcc
	v_mov_b32_e32 v11, v6
	s_nop 0
	v_addc_co_u32_e32 v13, vcc, 0, v12, vcc
	v_mul_lo_u32 v12, v5, v7
	v_lshl_add_u64 v[10:11], v[10:11], 0, v[12:13]
	v_add_co_u32_e32 v1, vcc, v1, v10
	v_mul_hi_u32 v10, s2, v1
	s_nop 0
	v_addc_co_u32_e32 v5, vcc, v5, v11, vcc
	v_mul_lo_u32 v7, s2, v5
	v_add_u32_e32 v7, v10, v7
	v_mul_lo_u32 v10, s3, v1
	v_add_u32_e32 v7, v7, v10
	v_mul_lo_u32 v12, s2, v1
	v_mul_hi_u32 v15, v5, v12
	v_mul_lo_u32 v16, v5, v12
	v_mul_hi_u32 v11, v1, v7
	;; [unrolled: 2-line block ×3, first 2 shown]
	v_mov_b32_e32 v13, v6
	v_lshl_add_u64 v[10:11], v[12:13], 0, v[10:11]
	v_add_co_u32_e32 v10, vcc, v10, v16
	v_mul_hi_u32 v14, v5, v7
	s_nop 0
	v_addc_co_u32_e32 v10, vcc, v11, v15, vcc
	v_mul_lo_u32 v12, v5, v7
	s_nop 0
	v_addc_co_u32_e32 v13, vcc, 0, v14, vcc
	v_mov_b32_e32 v11, v6
	v_lshl_add_u64 v[10:11], v[10:11], 0, v[12:13]
	v_add_co_u32_e32 v1, vcc, v1, v10
	v_mul_hi_u32 v12, v8, v1
	s_nop 0
	v_addc_co_u32_e32 v5, vcc, v5, v11, vcc
	v_mad_u64_u32 v[10:11], s[2:3], v8, v5, 0
	v_mov_b32_e32 v13, v6
	v_lshl_add_u64 v[10:11], v[12:13], 0, v[10:11]
	v_mad_u64_u32 v[14:15], s[2:3], v9, v1, 0
	v_add_co_u32_e32 v1, vcc, v10, v14
	v_mad_u64_u32 v[12:13], s[2:3], v9, v5, 0
	s_nop 0
	v_addc_co_u32_e32 v10, vcc, v11, v15, vcc
	v_mov_b32_e32 v11, v6
	s_nop 0
	v_addc_co_u32_e32 v13, vcc, 0, v13, vcc
	v_lshl_add_u64 v[10:11], v[10:11], 0, v[12:13]
	v_mul_lo_u32 v1, s25, v10
	v_mul_lo_u32 v5, s24, v11
	v_mad_u64_u32 v[12:13], s[2:3], s24, v10, 0
	v_add3_u32 v1, v13, v5, v1
	v_sub_u32_e32 v5, v9, v1
	v_mov_b32_e32 v7, s25
	v_sub_co_u32_e32 v16, vcc, v8, v12
	v_lshl_add_u64 v[14:15], v[10:11], 0, 1
	s_nop 0
	v_subb_co_u32_e64 v5, s[2:3], v5, v7, vcc
	v_subrev_co_u32_e64 v7, s[2:3], s24, v16
	v_subb_co_u32_e32 v1, vcc, v9, v1, vcc
	s_nop 0
	v_subbrev_co_u32_e64 v5, s[2:3], 0, v5, s[2:3]
	v_cmp_le_u32_e64 s[2:3], s25, v5
	v_cmp_le_u32_e32 vcc, s25, v1
	s_nop 0
	v_cndmask_b32_e64 v12, 0, -1, s[2:3]
	v_cmp_le_u32_e64 s[2:3], s24, v7
	s_nop 1
	v_cndmask_b32_e64 v7, 0, -1, s[2:3]
	v_cmp_eq_u32_e64 s[2:3], s25, v5
	s_nop 1
	v_cndmask_b32_e64 v5, v12, v7, s[2:3]
	v_lshl_add_u64 v[12:13], v[10:11], 0, 2
	v_cmp_ne_u32_e64 s[2:3], 0, v5
	v_cndmask_b32_e64 v7, 0, -1, vcc
	v_cmp_le_u32_e32 vcc, s24, v16
	v_cndmask_b32_e64 v5, v15, v13, s[2:3]
	s_nop 0
	v_cndmask_b32_e64 v13, 0, -1, vcc
	v_cmp_eq_u32_e32 vcc, s25, v1
	s_nop 1
	v_cndmask_b32_e32 v1, v7, v13, vcc
	v_cmp_ne_u32_e32 vcc, 0, v1
	v_cndmask_b32_e64 v1, v14, v12, s[2:3]
	s_nop 0
	v_cndmask_b32_e32 v123, v11, v5, vcc
	v_cndmask_b32_e32 v122, v10, v1, vcc
.LBB0_4:                                ;   in Loop: Header=BB0_2 Depth=1
	s_andn2_saveexec_b64 s[2:3], s[26:27]
	s_cbranch_execz .LBB0_6
; %bb.5:                                ;   in Loop: Header=BB0_2 Depth=1
	v_cvt_f32_u32_e32 v1, s24
	s_sub_i32 s26, 0, s24
	v_mov_b32_e32 v123, v6
	v_rcp_iflag_f32_e32 v1, v1
	s_nop 0
	v_mul_f32_e32 v1, 0x4f7ffffe, v1
	v_cvt_u32_f32_e32 v1, v1
	v_mul_lo_u32 v5, s26, v1
	v_mul_hi_u32 v5, v1, v5
	v_add_u32_e32 v1, v1, v5
	v_mul_hi_u32 v1, v8, v1
	v_mul_lo_u32 v5, v1, s24
	v_sub_u32_e32 v5, v8, v5
	v_add_u32_e32 v7, 1, v1
	v_subrev_u32_e32 v10, s24, v5
	v_cmp_le_u32_e32 vcc, s24, v5
	s_nop 1
	v_cndmask_b32_e32 v5, v5, v10, vcc
	v_cndmask_b32_e32 v1, v1, v7, vcc
	v_add_u32_e32 v7, 1, v1
	v_cmp_le_u32_e32 vcc, s24, v5
	s_nop 1
	v_cndmask_b32_e32 v122, v1, v7, vcc
.LBB0_6:                                ;   in Loop: Header=BB0_2 Depth=1
	s_or_b64 exec, exec, s[2:3]
	v_mad_u64_u32 v[10:11], s[2:3], v122, s24, 0
	s_load_dwordx2 s[2:3], s[18:19], 0x0
	s_add_u32 s22, s22, 1
	v_mul_lo_u32 v1, v123, s24
	v_mul_lo_u32 v5, v122, s25
	s_load_dwordx2 s[24:25], s[16:17], 0x0
	s_addc_u32 s23, s23, 0
	v_add3_u32 v1, v11, v5, v1
	v_sub_co_u32_e32 v5, vcc, v8, v10
	s_add_u32 s16, s16, 8
	s_nop 0
	v_subb_co_u32_e32 v1, vcc, v9, v1, vcc
	s_addc_u32 s17, s17, 0
	s_waitcnt lgkmcnt(0)
	v_mul_lo_u32 v7, s2, v1
	v_mul_lo_u32 v8, s3, v5
	v_mad_u64_u32 v[2:3], s[2:3], s2, v5, v[2:3]
	s_add_u32 s18, s18, 8
	v_add3_u32 v3, v8, v3, v7
	s_addc_u32 s19, s19, 0
	v_mov_b64_e32 v[8:9], s[10:11]
	v_mul_lo_u32 v1, s24, v1
	v_mul_lo_u32 v7, s25, v5
	v_mad_u64_u32 v[120:121], s[2:3], s24, v5, v[120:121]
	s_add_u32 s20, s20, 8
	v_cmp_ge_u64_e32 vcc, s[22:23], v[8:9]
	v_add3_u32 v121, v7, v121, v1
	s_addc_u32 s21, s21, 0
	s_cbranch_vccnz .LBB0_8
; %bb.7:                                ;   in Loop: Header=BB0_2 Depth=1
	v_mov_b64_e32 v[8:9], v[122:123]
	s_branch .LBB0_2
.LBB0_8:
	s_load_dwordx2 s[2:3], s[0:1], 0x28
	s_mov_b32 s0, 0x24924925
	v_mul_hi_u32 v1, v4, s0
	v_sub_u32_e32 v5, v4, v1
	v_lshrrev_b32_e32 v5, 1, v5
	v_add_u32_e32 v1, v5, v1
	s_lshl_b64 s[16:17], s[10:11], 3
	v_lshrrev_b32_e32 v1, 2, v1
	s_add_u32 s10, s14, s16
	v_mul_lo_u32 v1, v1, 7
	s_addc_u32 s11, s15, s17
	v_sub_u32_e32 v1, v4, v1
	s_waitcnt lgkmcnt(0)
	v_cmp_gt_u64_e64 s[0:1], s[2:3], v[122:123]
	v_cmp_le_u64_e32 vcc, s[2:3], v[122:123]
                                        ; implicit-def: $vgpr124
	s_and_saveexec_b64 s[2:3], vcc
	s_xor_b64 s[2:3], exec, s[2:3]
; %bb.9:
	s_mov_b32 s14, 0x7878788
	v_mul_hi_u32 v2, v0, s14
	v_mul_u32_u24_e32 v2, 34, v2
	v_sub_u32_e32 v124, v0, v2
                                        ; implicit-def: $vgpr0
                                        ; implicit-def: $vgpr2_vgpr3
; %bb.10:
	s_or_saveexec_b64 s[2:3], s[2:3]
	s_load_dwordx2 s[10:11], s[10:11], 0x0
	v_mul_u32_u24_e32 v4, 0x177, v1
	v_lshlrev_b32_e32 v220, 4, v4
	s_xor_b64 exec, exec, s[2:3]
	s_cbranch_execz .LBB0_14
; %bb.11:
	s_add_u32 s12, s12, s16
	s_addc_u32 s13, s13, s17
	s_load_dwordx2 s[12:13], s[12:13], 0x0
	s_mov_b32 s14, 0x7878788
	s_waitcnt lgkmcnt(0)
	v_mul_lo_u32 v1, s13, v122
	v_mul_lo_u32 v5, s12, v123
	v_mad_u64_u32 v[6:7], s[12:13], s12, v122, 0
	v_add3_u32 v7, v7, v5, v1
	v_mul_hi_u32 v1, v0, s14
	v_mul_u32_u24_e32 v1, 34, v1
	v_sub_u32_e32 v124, v0, v1
	v_lshl_add_u64 v[0:1], v[6:7], 4, s[4:5]
	v_lshl_add_u64 v[0:1], v[2:3], 4, v[0:1]
	v_lshlrev_b32_e32 v2, 4, v124
	v_mov_b32_e32 v3, 0
	v_lshl_add_u64 v[38:39], v[0:1], 0, v[2:3]
	v_add_co_u32_e32 v50, vcc, 0x1000, v38
	global_load_dwordx4 v[6:9], v[38:39], off
	global_load_dwordx4 v[10:13], v[38:39], off offset:544
	global_load_dwordx4 v[14:17], v[38:39], off offset:1088
	;; [unrolled: 1-line block ×7, first 2 shown]
	v_addc_co_u32_e32 v51, vcc, 0, v39, vcc
	global_load_dwordx4 v[38:41], v[50:51], off offset:256
	global_load_dwordx4 v[42:45], v[50:51], off offset:800
	;; [unrolled: 1-line block ×3, first 2 shown]
	v_add3_u32 v2, 0, v220, v2
	v_cmp_eq_u32_e32 vcc, 33, v124
	s_waitcnt vmcnt(10)
	ds_write_b128 v2, v[6:9]
	s_waitcnt vmcnt(9)
	ds_write_b128 v2, v[10:13] offset:544
	s_waitcnt vmcnt(8)
	ds_write_b128 v2, v[14:17] offset:1088
	;; [unrolled: 2-line block ×10, first 2 shown]
	s_and_saveexec_b64 s[4:5], vcc
	s_cbranch_execz .LBB0_13
; %bb.12:
	v_add_co_u32_e32 v0, vcc, 0x1000, v0
	v_mov_b32_e32 v124, 33
	s_nop 0
	v_addc_co_u32_e32 v1, vcc, 0, v1, vcc
	global_load_dwordx4 v[6:9], v[0:1], off offset:1888
	s_waitcnt vmcnt(0)
	ds_write_b128 v2, v[6:9] offset:5456
.LBB0_13:
	s_or_b64 exec, exec, s[4:5]
.LBB0_14:
	s_or_b64 exec, exec, s[2:3]
	v_lshl_add_u32 v218, v4, 4, 0
	v_lshlrev_b32_e32 v10, 4, v124
	v_add_u32_e32 v219, v218, v10
	s_waitcnt lgkmcnt(0)
	s_barrier
	v_sub_u32_e32 v11, v218, v10
	ds_read_b64 v[6:7], v219
	ds_read_b64 v[8:9], v11 offset:5984
	s_add_u32 s2, s8, 0x1650
	s_addc_u32 s3, s9, 0
	v_cmp_ne_u32_e32 vcc, 0, v124
                                        ; implicit-def: $vgpr4_vgpr5
	s_waitcnt lgkmcnt(0)
	v_add_f64 v[0:1], v[6:7], v[8:9]
	v_add_f64 v[2:3], v[6:7], -v[8:9]
	s_and_saveexec_b64 s[4:5], vcc
	s_xor_b64 s[4:5], exec, s[4:5]
	s_cbranch_execz .LBB0_16
; %bb.15:
	v_mov_b32_e32 v125, 0
	v_lshl_add_u64 v[0:1], v[124:125], 4, s[2:3]
	global_load_dwordx4 v[12:15], v[0:1], off
	ds_read_b64 v[0:1], v11 offset:5992
	ds_read_b64 v[2:3], v219 offset:8
	v_add_f64 v[4:5], v[6:7], v[8:9]
	v_add_f64 v[8:9], v[6:7], -v[8:9]
	s_waitcnt lgkmcnt(0)
	v_add_f64 v[16:17], v[0:1], v[2:3]
	v_add_f64 v[0:1], v[2:3], -v[0:1]
	s_waitcnt vmcnt(0)
	v_fma_f64 v[18:19], v[8:9], v[14:15], v[4:5]
	v_fma_f64 v[4:5], -v[8:9], v[14:15], v[4:5]
	v_fma_f64 v[6:7], v[16:17], v[14:15], -v[0:1]
	v_fma_f64 v[2:3], v[16:17], v[14:15], v[0:1]
	v_fmac_f64_e32 v[4:5], v[16:17], v[12:13]
	v_fmac_f64_e32 v[6:7], v[8:9], v[12:13]
	v_fma_f64 v[0:1], -v[16:17], v[12:13], v[18:19]
	v_fmac_f64_e32 v[2:3], v[8:9], v[12:13]
	ds_write_b128 v11, v[4:7] offset:5984
	v_mov_b64_e32 v[4:5], v[124:125]
.LBB0_16:
	s_andn2_saveexec_b64 s[4:5], s[4:5]
	s_cbranch_execz .LBB0_18
; %bb.17:
	ds_read_b128 v[4:7], v218 offset:2992
	s_waitcnt lgkmcnt(0)
	v_add_f64 v[4:5], v[4:5], v[4:5]
	v_mul_f64 v[6:7], v[6:7], -2.0
	ds_write_b128 v218, v[4:7] offset:2992
	v_mov_b64_e32 v[4:5], 0
.LBB0_18:
	s_or_b64 exec, exec, s[4:5]
	v_lshl_add_u64 v[4:5], v[4:5], 4, s[2:3]
	global_load_dwordx4 v[6:9], v[4:5], off offset:544
	global_load_dwordx4 v[12:15], v[4:5], off offset:1088
	;; [unrolled: 1-line block ×4, first 2 shown]
	ds_write_b128 v219, v[0:3]
	ds_read_b128 v[0:3], v219 offset:544
	ds_read_b128 v[24:27], v11 offset:5440
	v_cmp_gt_u32_e32 vcc, 17, v124
	s_waitcnt lgkmcnt(0)
	v_add_f64 v[28:29], v[0:1], v[24:25]
	v_add_f64 v[30:31], v[26:27], v[2:3]
	v_add_f64 v[32:33], v[0:1], -v[24:25]
	v_add_f64 v[0:1], v[2:3], -v[26:27]
	s_waitcnt vmcnt(3)
	v_fma_f64 v[34:35], v[32:33], v[8:9], v[28:29]
	v_fma_f64 v[2:3], v[30:31], v[8:9], v[0:1]
	v_fma_f64 v[24:25], -v[32:33], v[8:9], v[28:29]
	v_fma_f64 v[26:27], v[30:31], v[8:9], -v[0:1]
	v_fma_f64 v[0:1], -v[30:31], v[6:7], v[34:35]
	v_fmac_f64_e32 v[2:3], v[32:33], v[6:7]
	v_fmac_f64_e32 v[24:25], v[30:31], v[6:7]
	v_fmac_f64_e32 v[26:27], v[32:33], v[6:7]
	ds_write_b128 v219, v[0:3] offset:544
	ds_write_b128 v11, v[24:27] offset:5440
	ds_read_b128 v[0:3], v219 offset:1088
	ds_read_b128 v[6:9], v11 offset:4896
	s_waitcnt lgkmcnt(0)
	v_add_f64 v[24:25], v[0:1], v[6:7]
	v_add_f64 v[26:27], v[8:9], v[2:3]
	v_add_f64 v[28:29], v[0:1], -v[6:7]
	v_add_f64 v[0:1], v[2:3], -v[8:9]
	s_waitcnt vmcnt(2)
	v_fma_f64 v[30:31], v[28:29], v[14:15], v[24:25]
	v_fma_f64 v[2:3], v[26:27], v[14:15], v[0:1]
	v_fma_f64 v[6:7], -v[28:29], v[14:15], v[24:25]
	v_fma_f64 v[8:9], v[26:27], v[14:15], -v[0:1]
	v_fma_f64 v[0:1], -v[26:27], v[12:13], v[30:31]
	v_fmac_f64_e32 v[2:3], v[28:29], v[12:13]
	v_fmac_f64_e32 v[6:7], v[26:27], v[12:13]
	v_fmac_f64_e32 v[8:9], v[28:29], v[12:13]
	ds_write_b128 v219, v[0:3] offset:1088
	ds_write_b128 v11, v[6:9] offset:4896
	ds_read_b128 v[0:3], v219 offset:1632
	ds_read_b128 v[6:9], v11 offset:4352
	;; [unrolled: 18-line block ×3, first 2 shown]
	s_waitcnt lgkmcnt(0)
	v_add_f64 v[12:13], v[0:1], v[6:7]
	v_add_f64 v[14:15], v[8:9], v[2:3]
	v_add_f64 v[16:17], v[0:1], -v[6:7]
	v_add_f64 v[0:1], v[2:3], -v[8:9]
	s_waitcnt vmcnt(0)
	v_fma_f64 v[18:19], v[16:17], v[22:23], v[12:13]
	v_fma_f64 v[2:3], v[14:15], v[22:23], v[0:1]
	v_fma_f64 v[6:7], -v[16:17], v[22:23], v[12:13]
	v_fma_f64 v[8:9], v[14:15], v[22:23], -v[0:1]
	v_fma_f64 v[0:1], -v[14:15], v[20:21], v[18:19]
	v_fmac_f64_e32 v[2:3], v[16:17], v[20:21]
	v_fmac_f64_e32 v[6:7], v[14:15], v[20:21]
	;; [unrolled: 1-line block ×3, first 2 shown]
	ds_write_b128 v219, v[0:3] offset:2176
	ds_write_b128 v11, v[6:9] offset:3808
	s_and_saveexec_b64 s[2:3], vcc
	s_cbranch_execz .LBB0_20
; %bb.19:
	global_load_dwordx4 v[0:3], v[4:5], off offset:2720
	ds_read_b128 v[4:7], v219 offset:2720
	ds_read_b128 v[12:15], v11 offset:3264
	s_waitcnt lgkmcnt(0)
	v_add_f64 v[8:9], v[4:5], v[12:13]
	v_add_f64 v[16:17], v[14:15], v[6:7]
	v_add_f64 v[12:13], v[4:5], -v[12:13]
	v_add_f64 v[14:15], v[6:7], -v[14:15]
	s_waitcnt vmcnt(0)
	v_fma_f64 v[18:19], v[12:13], v[2:3], v[8:9]
	v_fma_f64 v[4:5], v[16:17], v[2:3], v[14:15]
	v_fma_f64 v[6:7], -v[12:13], v[2:3], v[8:9]
	v_fma_f64 v[8:9], v[16:17], v[2:3], -v[14:15]
	v_fma_f64 v[2:3], -v[16:17], v[0:1], v[18:19]
	v_fmac_f64_e32 v[4:5], v[12:13], v[0:1]
	v_fmac_f64_e32 v[6:7], v[16:17], v[0:1]
	;; [unrolled: 1-line block ×3, first 2 shown]
	ds_write_b128 v219, v[2:5] offset:2720
	ds_write_b128 v11, v[6:9] offset:3264
.LBB0_20:
	s_or_b64 exec, exec, s[2:3]
	v_add3_u32 v125, 0, v10, v220
	s_waitcnt lgkmcnt(0)
	s_barrier
	s_barrier
	ds_read_b128 v[8:11], v125 offset:5632
	ds_read_b128 v[12:15], v125 offset:352
	ds_read_b128 v[16:19], v219
	ds_read_b128 v[20:23], v125 offset:704
	ds_read_b128 v[24:27], v125 offset:1056
	;; [unrolled: 1-line block ×4, first 2 shown]
	s_mov_b32 s12, 0x6c9a05f6
	s_waitcnt lgkmcnt(5)
	v_add_f64 v[130:131], v[14:15], -v[10:11]
	s_mov_b32 s4, 0x6ed5f1bb
	s_mov_b32 s13, 0xbfe9895b
	;; [unrolled: 1-line block ×3, first 2 shown]
	ds_read_b128 v[36:39], v125 offset:4576
	ds_read_b128 v[40:43], v125 offset:1408
	v_add_f64 v[126:127], v[12:13], v[8:9]
	v_add_f64 v[128:129], v[14:15], v[10:11]
	s_mov_b32 s5, 0xbfe348c8
	v_mul_f64 v[88:89], v[130:131], s[12:13]
	s_waitcnt lgkmcnt(3)
	v_add_f64 v[140:141], v[22:23], -v[30:31]
	s_mov_b32 s14, 0xc61f0d01
	s_mov_b32 s35, 0x3feec746
	v_add_f64 v[132:133], v[12:13], -v[8:9]
	v_mul_f64 v[90:91], v[128:129], s[4:5]
	v_fma_f64 v[0:1], v[126:127], s[4:5], -v[88:89]
	v_add_f64 v[134:135], v[20:21], v[28:29]
	v_add_f64 v[138:139], v[22:23], v[30:31]
	s_mov_b32 s15, 0xbfd183b1
	v_mul_f64 v[92:93], v[140:141], s[34:35]
	s_mov_b32 s20, 0x5d8e7cdc
	ds_read_b128 v[44:47], v125 offset:1760
	ds_read_b128 v[48:51], v125 offset:4224
	v_add_f64 v[0:1], v[16:17], v[0:1]
	v_fma_f64 v[2:3], s[12:13], v[132:133], v[90:91]
	v_add_f64 v[146:147], v[20:21], -v[28:29]
	v_mul_f64 v[94:95], v[138:139], s[14:15]
	v_fma_f64 v[4:5], v[134:135], s[14:15], -v[92:93]
	s_mov_b32 s16, 0x370991
	s_mov_b32 s21, 0xbfd71e95
	s_waitcnt lgkmcnt(4)
	v_add_f64 v[144:145], v[26:27], -v[34:35]
	v_add_f64 v[2:3], v[18:19], v[2:3]
	v_add_f64 v[0:1], v[4:5], v[0:1]
	v_fma_f64 v[4:5], s[34:35], v[146:147], v[94:95]
	s_mov_b32 s17, 0x3fedd6d0
	v_add_f64 v[136:137], v[24:25], v[32:33]
	v_mul_f64 v[96:97], v[144:145], s[20:21]
	v_add_f64 v[142:143], v[26:27], v[34:35]
	s_mov_b32 s22, 0x4363dd80
	ds_read_b128 v[52:55], v125 offset:3872
	ds_read_b128 v[56:59], v125 offset:2112
	v_add_f64 v[2:3], v[4:5], v[2:3]
	v_fma_f64 v[4:5], v[136:137], s[16:17], -v[96:97]
	v_add_f64 v[150:151], v[24:25], -v[32:33]
	v_mul_f64 v[98:99], v[142:143], s[16:17]
	s_mov_b32 s18, 0x910ea3b9
	s_mov_b32 s23, 0xbfe0d888
	s_waitcnt lgkmcnt(4)
	v_add_f64 v[158:159], v[42:43], -v[38:39]
	v_add_f64 v[0:1], v[4:5], v[0:1]
	v_fma_f64 v[4:5], s[20:21], v[150:151], v[98:99]
	s_mov_b32 s19, 0xbfeb34fa
	v_add_f64 v[148:149], v[40:41], v[36:37]
	v_mul_f64 v[100:101], v[158:159], s[22:23]
	v_add_f64 v[154:155], v[42:43], v[38:39]
	s_mov_b32 s30, 0xeb564b22
	ds_read_b128 v[60:63], v125 offset:2464
	ds_read_b128 v[64:67], v125 offset:3520
	v_add_f64 v[2:3], v[4:5], v[2:3]
	v_fma_f64 v[4:5], v[148:149], s[18:19], -v[100:101]
	v_add_f64 v[164:165], v[40:41], -v[36:37]
	v_mul_f64 v[104:105], v[154:155], s[18:19]
	s_mov_b32 s24, 0x3259b75e
	s_mov_b32 s31, 0xbfefdd0d
	s_mov_b32 s51, 0x3fefdd0d
	s_mov_b32 s50, s30
	s_waitcnt lgkmcnt(4)
	v_add_f64 v[160:161], v[46:47], -v[50:51]
	v_add_f64 v[0:1], v[4:5], v[0:1]
	v_fma_f64 v[4:5], s[22:23], v[164:165], v[104:105]
	s_mov_b32 s25, 0x3fb79ee6
	v_add_f64 v[152:153], v[44:45], v[48:49]
	v_mul_f64 v[102:103], v[160:161], s[50:51]
	v_add_f64 v[156:157], v[46:47], v[50:51]
	s_mov_b32 s36, 0x2a9d6da3
	ds_read_b128 v[68:71], v125 offset:2816
	ds_read_b128 v[72:75], v125 offset:3168
	v_add_f64 v[2:3], v[4:5], v[2:3]
	v_fma_f64 v[4:5], v[152:153], s[24:25], -v[102:103]
	v_add_f64 v[168:169], v[44:45], -v[48:49]
	v_mul_f64 v[106:107], v[156:157], s[24:25]
	s_mov_b32 s26, 0x75d4884
	s_mov_b32 s37, 0xbfe58eea
	s_waitcnt lgkmcnt(4)
	v_add_f64 v[172:173], v[58:59], -v[54:55]
	v_add_f64 v[0:1], v[4:5], v[0:1]
	v_fma_f64 v[4:5], s[50:51], v[168:169], v[106:107]
	s_mov_b32 s27, 0x3fe7a5f6
	v_add_f64 v[162:163], v[56:57], v[52:53]
	v_mul_f64 v[108:109], v[172:173], s[36:37]
	v_add_f64 v[166:167], v[58:59], v[54:55]
	s_mov_b32 s42, 0xacd6c6b4
	v_add_f64 v[2:3], v[4:5], v[2:3]
	v_fma_f64 v[4:5], v[162:163], s[26:27], -v[108:109]
	v_add_f64 v[180:181], v[56:57], -v[52:53]
	v_mul_f64 v[110:111], v[166:167], s[26:27]
	s_mov_b32 s38, 0x7faef3
	s_mov_b32 s43, 0xbfc7851a
	s_waitcnt lgkmcnt(2)
	v_add_f64 v[178:179], v[62:63], -v[66:67]
	v_add_f64 v[0:1], v[4:5], v[0:1]
	v_fma_f64 v[4:5], s[36:37], v[180:181], v[110:111]
	s_mov_b32 s39, 0xbfef7484
	v_add_f64 v[170:171], v[60:61], v[64:65]
	v_mul_f64 v[112:113], v[178:179], s[42:43]
	v_add_f64 v[174:175], v[62:63], v[66:67]
	s_mov_b32 s46, 0x7c9e640b
	v_add_f64 v[2:3], v[4:5], v[2:3]
	v_fma_f64 v[4:5], v[170:171], s[38:39], -v[112:113]
	v_add_f64 v[186:187], v[60:61], -v[64:65]
	v_mul_f64 v[114:115], v[174:175], s[38:39]
	s_mov_b32 s40, 0x2b2883cd
	s_mov_b32 s47, 0x3feca52d
	s_waitcnt lgkmcnt(0)
	v_add_f64 v[184:185], v[70:71], -v[74:75]
	v_add_f64 v[0:1], v[4:5], v[0:1]
	v_fma_f64 v[4:5], s[42:43], v[186:187], v[114:115]
	s_mov_b32 s41, 0x3fdc86fa
	v_add_f64 v[176:177], v[68:69], v[72:73]
	v_mul_f64 v[116:117], v[184:185], s[46:47]
	v_add_f64 v[182:183], v[70:71], v[74:75]
	v_add_f64 v[2:3], v[4:5], v[2:3]
	v_fma_f64 v[4:5], v[176:177], s[40:41], -v[116:117]
	v_add_f64 v[188:189], v[68:69], -v[72:73]
	v_mul_f64 v[118:119], v[182:183], s[40:41]
	v_add_f64 v[0:1], v[4:5], v[0:1]
	v_fma_f64 v[4:5], s[46:47], v[188:189], v[118:119]
	v_mul_f64 v[84:85], v[130:131], s[22:23]
	v_add_f64 v[2:3], v[4:5], v[2:3]
	v_fma_f64 v[4:5], v[126:127], s[18:19], -v[84:85]
	v_mul_f64 v[190:191], v[140:141], s[46:47]
	v_add_f64 v[4:5], v[16:17], v[4:5]
	v_fma_f64 v[6:7], v[134:135], s[40:41], -v[190:191]
	v_mul_f64 v[198:199], v[128:129], s[18:19]
	v_add_f64 v[4:5], v[6:7], v[4:5]
	v_fma_f64 v[6:7], s[22:23], v[132:133], v[198:199]
	v_mul_f64 v[200:201], v[138:139], s[40:41]
	v_add_f64 v[6:7], v[18:19], v[6:7]
	v_fma_f64 v[76:77], s[46:47], v[146:147], v[200:201]
	v_mul_f64 v[192:193], v[144:145], s[30:31]
	v_add_f64 v[6:7], v[76:77], v[6:7]
	v_fma_f64 v[76:77], v[136:137], s[24:25], -v[192:193]
	v_mul_f64 v[204:205], v[142:143], s[24:25]
	s_mov_b32 s53, 0x3fe9895b
	s_mov_b32 s52, s12
	v_add_f64 v[4:5], v[76:77], v[4:5]
	v_fma_f64 v[76:77], s[30:31], v[150:151], v[204:205]
	v_mul_f64 v[194:195], v[158:159], s[52:53]
	v_add_f64 v[6:7], v[76:77], v[6:7]
	v_fma_f64 v[76:77], v[148:149], s[4:5], -v[194:195]
	v_mul_f64 v[208:209], v[154:155], s[4:5]
	v_add_f64 v[4:5], v[76:77], v[4:5]
	v_fma_f64 v[76:77], s[52:53], v[164:165], v[208:209]
	v_mul_f64 v[196:197], v[160:161], s[20:21]
	v_add_f64 v[6:7], v[76:77], v[6:7]
	v_fma_f64 v[76:77], v[152:153], s[16:17], -v[196:197]
	v_mul_f64 v[210:211], v[156:157], s[16:17]
	;; [unrolled: 6-line block ×3, first 2 shown]
	s_mov_b32 s49, 0x3fe58eea
	s_mov_b32 s48, s36
	v_add_f64 v[4:5], v[76:77], v[4:5]
	v_fma_f64 v[76:77], s[42:43], v[180:181], v[212:213]
	v_mul_f64 v[202:203], v[178:179], s[48:49]
	v_add_f64 v[6:7], v[76:77], v[6:7]
	v_fma_f64 v[76:77], v[170:171], s[26:27], -v[202:203]
	v_mul_f64 v[214:215], v[174:175], s[26:27]
	s_mov_b32 s45, 0xbfeec746
	s_mov_b32 s44, s34
	v_add_f64 v[4:5], v[76:77], v[4:5]
	v_fma_f64 v[76:77], s[48:49], v[186:187], v[214:215]
	v_mul_f64 v[206:207], v[184:185], s[44:45]
	v_add_f64 v[6:7], v[76:77], v[6:7]
	v_fma_f64 v[76:77], v[176:177], s[14:15], -v[206:207]
	v_mul_f64 v[216:217], v[182:183], s[14:15]
	v_add_f64 v[4:5], v[76:77], v[4:5]
	v_fma_f64 v[76:77], s[44:45], v[188:189], v[216:217]
	v_add_f64 v[6:7], v[76:77], v[6:7]
	v_cmp_gt_u32_e64 s[2:3], 22, v124
	s_barrier
	s_and_saveexec_b64 s[28:29], s[2:3]
	s_cbranch_execz .LBB0_22
; %bb.21:
	s_mov_b32 s3, 0x3fd71e95
	s_mov_b32 s2, s20
	v_mul_f64 v[242:243], v[132:133], s[42:43]
	v_mul_f64 v[238:239], v[146:147], s[2:3]
	v_fma_f64 v[244:245], s[38:39], v[128:129], v[242:243]
	v_mul_f64 v[234:235], v[150:151], s[22:23]
	v_fma_f64 v[240:241], s[16:17], v[138:139], v[238:239]
	v_add_f64 v[244:245], v[18:19], v[244:245]
	v_mul_f64 v[230:231], v[164:165], s[48:49]
	v_fma_f64 v[236:237], s[18:19], v[142:143], v[234:235]
	v_add_f64 v[240:241], v[240:241], v[244:245]
	;; [unrolled: 3-line block ×7, first 2 shown]
	v_mul_f64 v[244:245], v[140:141], s[2:3]
	v_fma_f64 v[248:249], v[126:127], s[38:39], -v[246:247]
	v_add_f64 v[78:79], v[76:77], v[78:79]
	v_mul_f64 v[240:241], v[144:145], s[22:23]
	v_fma_f64 v[76:77], v[134:135], s[16:17], -v[244:245]
	v_add_f64 v[248:249], v[16:17], v[248:249]
	v_fma_f64 v[242:243], v[128:129], s[38:39], -v[242:243]
	v_fmac_f64_e32 v[246:247], s[38:39], v[126:127]
	v_mul_f64 v[236:237], v[158:159], s[48:49]
	v_add_f64 v[76:77], v[76:77], v[248:249]
	v_fma_f64 v[248:249], v[136:137], s[18:19], -v[240:241]
	v_fma_f64 v[238:239], v[138:139], s[16:17], -v[238:239]
	v_add_f64 v[242:243], v[18:19], v[242:243]
	v_fmac_f64_e32 v[244:245], s[16:17], v[134:135]
	v_add_f64 v[246:247], v[16:17], v[246:247]
	v_mul_f64 v[232:233], v[160:161], s[12:13]
	v_add_f64 v[76:77], v[248:249], v[76:77]
	v_fma_f64 v[248:249], v[148:149], s[26:27], -v[236:237]
	v_add_f64 v[238:239], v[238:239], v[242:243]
	v_fma_f64 v[234:235], v[142:143], s[18:19], -v[234:235]
	v_add_f64 v[244:245], v[244:245], v[246:247]
	v_fmac_f64_e32 v[240:241], s[18:19], v[136:137]
	v_mul_f64 v[228:229], v[172:173], s[46:47]
	v_add_f64 v[76:77], v[248:249], v[76:77]
	v_fma_f64 v[248:249], v[152:153], s[4:5], -v[232:233]
	v_add_f64 v[234:235], v[234:235], v[238:239]
	v_fma_f64 v[230:231], v[154:155], s[26:27], -v[230:231]
	v_add_f64 v[240:241], v[240:241], v[244:245]
	v_fmac_f64_e32 v[236:237], s[26:27], v[148:149]
	;; [unrolled: 7-line block ×3, first 2 shown]
	v_add_f64 v[76:77], v[248:249], v[76:77]
	v_fma_f64 v[248:249], v[170:171], s[14:15], -v[224:225]
	v_add_f64 v[226:227], v[226:227], v[230:231]
	v_fma_f64 v[222:223], v[166:167], s[40:41], -v[222:223]
	v_add_f64 v[232:233], v[232:233], v[236:237]
	v_fmac_f64_e32 v[228:229], s[40:41], v[162:163]
	v_add_f64 v[76:77], v[248:249], v[76:77]
	v_mul_f64 v[248:249], v[184:185], s[50:51]
	v_add_f64 v[222:223], v[222:223], v[226:227]
	v_fma_f64 v[82:83], v[174:175], s[14:15], -v[82:83]
	v_add_f64 v[228:229], v[228:229], v[232:233]
	v_fmac_f64_e32 v[224:225], s[14:15], v[170:171]
	v_fma_f64 v[250:251], v[176:177], s[24:25], -v[248:249]
	v_add_f64 v[82:83], v[82:83], v[222:223]
	v_add_f64 v[224:225], v[224:225], v[228:229]
	v_fma_f64 v[80:81], v[182:183], s[24:25], -v[80:81]
	v_fmac_f64_e32 v[248:249], s[24:25], v[176:177]
	v_add_f64 v[82:83], v[80:81], v[82:83]
	v_add_f64 v[80:81], v[248:249], v[224:225]
	v_mul_f64 v[248:249], v[188:189], s[44:45]
	v_mul_f64 v[234:235], v[132:133], s[22:23]
	v_add_f64 v[216:217], v[216:217], -v[248:249]
	v_mul_f64 v[248:249], v[186:187], s[48:49]
	v_mul_f64 v[246:247], v[146:147], s[46:47]
	v_add_f64 v[214:215], v[214:215], -v[248:249]
	v_mul_f64 v[248:249], v[180:181], s[42:43]
	v_add_f64 v[198:199], v[198:199], -v[234:235]
	;; [unrolled: 2-line block ×4, first 2 shown]
	v_add_f64 v[198:199], v[18:19], v[198:199]
	v_mul_f64 v[242:243], v[132:133], s[12:13]
	v_add_f64 v[210:211], v[210:211], -v[248:249]
	v_mul_f64 v[248:249], v[164:165], s[52:53]
	v_add_f64 v[204:205], v[204:205], -v[232:233]
	v_add_f64 v[198:199], v[200:201], v[198:199]
	v_mul_f64 v[238:239], v[126:127], s[18:19]
	v_mul_f64 v[226:227], v[146:147], s[34:35]
	v_add_f64 v[208:209], v[208:209], -v[248:249]
	v_add_f64 v[198:199], v[204:205], v[198:199]
	v_add_f64 v[90:91], v[90:91], -v[242:243]
	v_mul_f64 v[222:223], v[134:135], s[40:41]
	v_mul_f64 v[240:241], v[150:151], s[20:21]
	v_add_f64 v[198:199], v[208:209], v[198:199]
	v_add_f64 v[84:85], v[238:239], v[84:85]
	v_add_f64 v[94:95], v[94:95], -v[226:227]
	v_add_f64 v[90:91], v[18:19], v[90:91]
	v_mul_f64 v[236:237], v[136:137], s[24:25]
	v_mul_f64 v[224:225], v[164:165], s[22:23]
	v_add_f64 v[198:199], v[210:211], v[198:199]
	v_add_f64 v[190:191], v[222:223], v[190:191]
	v_add_f64 v[84:85], v[16:17], v[84:85]
	v_add_f64 v[98:99], v[98:99], -v[240:241]
	v_add_f64 v[90:91], v[94:95], v[90:91]
	v_add_f64 v[76:77], v[250:251], v[76:77]
	v_mul_f64 v[250:251], v[126:127], s[4:5]
	v_mul_f64 v[248:249], v[148:149], s[4:5]
	;; [unrolled: 1-line block ×3, first 2 shown]
	v_add_f64 v[198:199], v[212:213], v[198:199]
	v_add_f64 v[192:193], v[236:237], v[192:193]
	;; [unrolled: 1-line block ×3, first 2 shown]
	v_add_f64 v[104:105], v[104:105], -v[224:225]
	v_add_f64 v[90:91], v[98:99], v[90:91]
	v_mul_f64 v[230:231], v[134:135], s[14:15]
	v_mul_f64 v[234:235], v[152:153], s[16:17]
	v_mul_f64 v[204:205], v[180:181], s[36:37]
	v_add_f64 v[198:199], v[214:215], v[198:199]
	v_mul_f64 v[214:215], v[176:177], s[14:15]
	v_add_f64 v[194:195], v[248:249], v[194:195]
	v_add_f64 v[84:85], v[192:193], v[84:85]
	v_add_f64 v[106:107], v[106:107], -v[246:247]
	v_add_f64 v[90:91], v[104:105], v[90:91]
	v_add_f64 v[88:89], v[250:251], v[88:89]
	v_mul_f64 v[244:245], v[136:137], s[16:17]
	v_mul_f64 v[208:209], v[162:163], s[38:39]
	;; [unrolled: 1-line block ×3, first 2 shown]
	v_add_f64 v[206:207], v[214:215], v[206:207]
	v_mul_f64 v[214:215], v[170:171], s[26:27]
	v_add_f64 v[196:197], v[234:235], v[196:197]
	v_add_f64 v[84:85], v[194:195], v[84:85]
	v_add_f64 v[110:111], v[110:111], -v[204:205]
	v_add_f64 v[90:91], v[106:107], v[90:91]
	v_add_f64 v[92:93], v[230:231], v[92:93]
	;; [unrolled: 1-line block ×3, first 2 shown]
	v_mul_f64 v[228:229], v[148:149], s[18:19]
	v_add_f64 v[202:203], v[214:215], v[202:203]
	v_mul_f64 v[214:215], v[176:177], s[40:41]
	v_add_f64 v[208:209], v[208:209], v[86:87]
	;; [unrolled: 2-line block ×3, first 2 shown]
	v_add_f64 v[114:115], v[114:115], -v[212:213]
	v_add_f64 v[90:91], v[110:111], v[90:91]
	v_add_f64 v[96:97], v[244:245], v[96:97]
	;; [unrolled: 1-line block ×3, first 2 shown]
	s_mov_b32 s57, 0x3fe0d888
	s_mov_b32 s56, s22
	v_mul_f64 v[190:191], v[132:133], s[44:45]
	v_mul_f64 v[232:233], v[152:153], s[24:25]
	;; [unrolled: 1-line block ×3, first 2 shown]
	v_add_f64 v[84:85], v[208:209], v[84:85]
	v_add_f64 v[118:119], v[118:119], -v[252:253]
	v_add_f64 v[90:91], v[114:115], v[90:91]
	v_add_f64 v[94:95], v[214:215], v[116:117]
	;; [unrolled: 1-line block ×4, first 2 shown]
	v_mul_f64 v[116:117], v[146:147], s[56:57]
	v_fma_f64 v[192:193], s[14:15], v[128:129], v[190:191]
	v_mul_f64 v[208:209], v[130:131], s[44:45]
	v_mul_f64 v[200:201], v[162:163], s[26:27]
	v_add_f64 v[84:85], v[202:203], v[84:85]
	v_add_f64 v[90:91], v[118:119], v[90:91]
	;; [unrolled: 1-line block ×5, first 2 shown]
	s_mov_b32 s55, 0xbfeca52d
	s_mov_b32 s54, s46
	v_mul_f64 v[112:113], v[150:151], s[48:49]
	v_fma_f64 v[118:119], s[18:19], v[138:139], v[116:117]
	v_add_f64 v[192:193], v[18:19], v[192:193]
	v_mul_f64 v[204:205], v[140:141], s[56:57]
	v_fma_f64 v[210:211], v[126:127], s[14:15], -v[208:209]
	v_add_f64 v[84:85], v[206:207], v[84:85]
	v_add_f64 v[104:105], v[200:201], v[108:109]
	;; [unrolled: 1-line block ×3, first 2 shown]
	v_mul_f64 v[108:109], v[164:165], s[54:55]
	v_fma_f64 v[114:115], s[26:27], v[142:143], v[112:113]
	v_add_f64 v[118:119], v[118:119], v[192:193]
	v_mul_f64 v[200:201], v[144:145], s[48:49]
	v_fma_f64 v[206:207], v[134:135], s[18:19], -v[204:205]
	v_add_f64 v[210:211], v[16:17], v[210:211]
	v_add_f64 v[88:89], v[104:105], v[88:89]
	v_mul_f64 v[104:105], v[168:169], s[42:43]
	v_fma_f64 v[110:111], s[40:41], v[154:155], v[108:109]
	v_add_f64 v[114:115], v[114:115], v[118:119]
	v_mul_f64 v[196:197], v[158:159], s[54:55]
	v_fma_f64 v[202:203], v[136:137], s[26:27], -v[200:201]
	v_add_f64 v[206:207], v[206:207], v[210:211]
	v_add_f64 v[86:87], v[216:217], v[198:199]
	;; [unrolled: 7-line block ×4, first 2 shown]
	v_mul_f64 v[96:97], v[188:189], s[12:13]
	v_fma_f64 v[94:95], s[16:17], v[174:175], v[98:99]
	v_add_f64 v[102:103], v[102:103], v[106:107]
	v_mul_f64 v[106:107], v[178:179], s[20:21]
	v_fma_f64 v[118:119], v[162:163], s[24:25], -v[114:115]
	v_add_f64 v[194:195], v[194:195], v[198:199]
	v_fma_f64 v[92:93], s[4:5], v[182:183], v[96:97]
	v_add_f64 v[94:95], v[94:95], v[102:103]
	v_mul_f64 v[102:103], v[184:185], s[12:13]
	v_fma_f64 v[110:111], v[170:171], s[16:17], -v[106:107]
	v_add_f64 v[118:119], v[118:119], v[194:195]
	v_add_f64 v[94:95], v[92:93], v[94:95]
	v_fma_f64 v[92:93], v[176:177], s[4:5], -v[102:103]
	v_add_f64 v[110:111], v[110:111], v[118:119]
	v_add_f64 v[92:93], v[92:93], v[110:111]
	v_fma_f64 v[110:111], v[142:143], s[26:27], -v[112:113]
	v_fma_f64 v[112:113], v[138:139], s[18:19], -v[116:117]
	v_fma_f64 v[116:117], v[128:129], s[14:15], -v[190:191]
	v_add_f64 v[116:117], v[18:19], v[116:117]
	v_add_f64 v[112:113], v[112:113], v[116:117]
	v_fma_f64 v[108:109], v[154:155], s[40:41], -v[108:109]
	v_add_f64 v[110:111], v[110:111], v[112:113]
	v_fma_f64 v[104:105], v[156:157], s[38:39], -v[104:105]
	;; [unrolled: 2-line block ×5, first 2 shown]
	v_add_f64 v[98:99], v[98:99], v[100:101]
	v_fmac_f64_e32 v[208:209], s[14:15], v[126:127]
	v_add_f64 v[98:99], v[96:97], v[98:99]
	v_fmac_f64_e32 v[204:205], s[18:19], v[134:135]
	;; [unrolled: 2-line block ×3, first 2 shown]
	v_add_f64 v[96:97], v[204:205], v[96:97]
	v_mul_f64 v[198:199], v[132:133], s[30:31]
	v_fmac_f64_e32 v[196:197], s[40:41], v[148:149]
	v_add_f64 v[96:97], v[200:201], v[96:97]
	v_mul_f64 v[194:195], v[146:147], s[42:43]
	v_fma_f64 v[200:201], s[24:25], v[128:129], v[198:199]
	v_mul_f64 v[216:217], v[130:131], s[30:31]
	v_fmac_f64_e32 v[192:193], s[38:39], v[152:153]
	v_add_f64 v[96:97], v[196:197], v[96:97]
	v_mul_f64 v[190:191], v[150:151], s[34:35]
	v_fma_f64 v[196:197], s[38:39], v[138:139], v[194:195]
	v_add_f64 v[200:201], v[18:19], v[200:201]
	v_mul_f64 v[212:213], v[140:141], s[42:43]
	v_fma_f64 v[222:223], v[126:127], s[24:25], -v[216:217]
	v_add_f64 v[96:97], v[192:193], v[96:97]
	v_mul_f64 v[116:117], v[164:165], s[2:3]
	v_fma_f64 v[192:193], s[14:15], v[142:143], v[190:191]
	v_add_f64 v[196:197], v[196:197], v[200:201]
	v_mul_f64 v[208:209], v[144:145], s[34:35]
	v_fma_f64 v[214:215], v[134:135], s[38:39], -v[212:213]
	v_add_f64 v[222:223], v[16:17], v[222:223]
	v_fmac_f64_e32 v[114:115], s[24:25], v[162:163]
	v_mul_f64 v[112:113], v[168:169], s[54:55]
	v_fma_f64 v[118:119], s[16:17], v[154:155], v[116:117]
	v_add_f64 v[192:193], v[192:193], v[196:197]
	v_mul_f64 v[204:205], v[158:159], s[2:3]
	v_fma_f64 v[210:211], v[136:137], s[14:15], -v[208:209]
	v_add_f64 v[214:215], v[214:215], v[222:223]
	v_fmac_f64_e32 v[106:107], s[16:17], v[170:171]
	v_add_f64 v[96:97], v[114:115], v[96:97]
	v_mul_f64 v[108:109], v[180:181], s[22:23]
	v_fma_f64 v[114:115], s[40:41], v[156:157], v[112:113]
	v_add_f64 v[118:119], v[118:119], v[192:193]
	v_mul_f64 v[200:201], v[160:161], s[54:55]
	v_fma_f64 v[206:207], v[148:149], s[16:17], -v[204:205]
	v_add_f64 v[210:211], v[210:211], v[214:215]
	v_fmac_f64_e32 v[102:103], s[4:5], v[176:177]
	v_add_f64 v[96:97], v[106:107], v[96:97]
	v_mul_f64 v[106:107], v[186:187], s[52:53]
	v_fma_f64 v[110:111], s[18:19], v[166:167], v[108:109]
	v_add_f64 v[114:115], v[114:115], v[118:119]
	v_mul_f64 v[192:193], v[172:173], s[22:23]
	v_fma_f64 v[202:203], v[152:153], s[40:41], -v[200:201]
	v_add_f64 v[206:207], v[206:207], v[210:211]
	v_add_f64 v[96:97], v[102:103], v[96:97]
	v_mul_f64 v[104:105], v[188:189], s[48:49]
	v_fma_f64 v[102:103], s[4:5], v[174:175], v[106:107]
	v_add_f64 v[110:111], v[110:111], v[114:115]
	v_mul_f64 v[118:119], v[178:179], s[52:53]
	v_fma_f64 v[196:197], v[162:163], s[18:19], -v[192:193]
	v_add_f64 v[202:203], v[202:203], v[206:207]
	v_fma_f64 v[100:101], s[26:27], v[182:183], v[104:105]
	v_add_f64 v[102:103], v[102:103], v[110:111]
	v_mul_f64 v[114:115], v[184:185], s[48:49]
	v_fma_f64 v[110:111], v[170:171], s[4:5], -v[118:119]
	v_add_f64 v[196:197], v[196:197], v[202:203]
	v_add_f64 v[102:103], v[100:101], v[102:103]
	v_fma_f64 v[100:101], v[176:177], s[26:27], -v[114:115]
	v_add_f64 v[110:111], v[110:111], v[196:197]
	v_add_f64 v[100:101], v[100:101], v[110:111]
	v_fma_f64 v[110:111], v[156:157], s[40:41], -v[112:113]
	v_fma_f64 v[112:113], v[154:155], s[16:17], -v[116:117]
	;; [unrolled: 1-line block ×5, first 2 shown]
	v_add_f64 v[194:195], v[18:19], v[194:195]
	v_add_f64 v[190:191], v[190:191], v[194:195]
	;; [unrolled: 1-line block ×4, first 2 shown]
	v_fma_f64 v[108:109], v[166:167], s[18:19], -v[108:109]
	v_add_f64 v[110:111], v[110:111], v[112:113]
	v_fma_f64 v[106:107], v[174:175], s[4:5], -v[106:107]
	v_add_f64 v[108:109], v[108:109], v[110:111]
	;; [unrolled: 2-line block ×3, first 2 shown]
	v_fmac_f64_e32 v[216:217], s[24:25], v[126:127]
	v_add_f64 v[110:111], v[104:105], v[106:107]
	v_fmac_f64_e32 v[212:213], s[38:39], v[134:135]
	v_add_f64 v[104:105], v[16:17], v[216:217]
	;; [unrolled: 2-line block ×3, first 2 shown]
	v_mul_f64 v[206:207], v[132:133], s[54:55]
	v_fmac_f64_e32 v[204:205], s[16:17], v[148:149]
	v_add_f64 v[104:105], v[208:209], v[104:105]
	s_mov_b32 s51, 0x3fc7851a
	s_mov_b32 s50, s42
	v_mul_f64 v[202:203], v[146:147], s[12:13]
	v_fma_f64 v[208:209], s[40:41], v[128:129], v[206:207]
	v_mul_f64 v[228:229], v[130:131], s[54:55]
	v_fmac_f64_e32 v[200:201], s[40:41], v[152:153]
	v_add_f64 v[104:105], v[204:205], v[104:105]
	v_mul_f64 v[198:199], v[150:151], s[50:51]
	v_fma_f64 v[204:205], s[4:5], v[138:139], v[202:203]
	v_add_f64 v[208:209], v[18:19], v[208:209]
	v_mul_f64 v[224:225], v[140:141], s[12:13]
	v_fma_f64 v[230:231], v[126:127], s[40:41], -v[228:229]
	v_fmac_f64_e32 v[192:193], s[18:19], v[162:163]
	v_add_f64 v[104:105], v[200:201], v[104:105]
	v_mul_f64 v[194:195], v[164:165], s[34:35]
	v_fma_f64 v[200:201], s[38:39], v[142:143], v[198:199]
	v_add_f64 v[204:205], v[204:205], v[208:209]
	v_mul_f64 v[216:217], v[144:145], s[50:51]
	v_fma_f64 v[226:227], v[134:135], s[4:5], -v[224:225]
	v_add_f64 v[230:231], v[16:17], v[230:231]
	v_fmac_f64_e32 v[118:119], s[4:5], v[170:171]
	v_add_f64 v[104:105], v[192:193], v[104:105]
	v_mul_f64 v[190:191], v[168:169], s[48:49]
	v_fma_f64 v[196:197], s[14:15], v[154:155], v[194:195]
	v_add_f64 v[200:201], v[200:201], v[204:205]
	v_mul_f64 v[212:213], v[158:159], s[34:35]
	v_fma_f64 v[222:223], v[136:137], s[38:39], -v[216:217]
	v_add_f64 v[226:227], v[226:227], v[230:231]
	;; [unrolled: 8-line block ×3, first 2 shown]
	v_add_f64 v[108:109], v[114:115], v[104:105]
	v_mul_f64 v[114:115], v[186:187], s[30:31]
	v_fma_f64 v[118:119], s[16:17], v[166:167], v[116:117]
	v_add_f64 v[192:193], v[192:193], v[196:197]
	v_mul_f64 v[200:201], v[172:173], s[20:21]
	v_fma_f64 v[210:211], v[152:153], s[26:27], -v[208:209]
	v_add_f64 v[214:215], v[214:215], v[222:223]
	v_mul_f64 v[112:113], v[188:189], s[22:23]
	v_fma_f64 v[106:107], s[24:25], v[174:175], v[114:115]
	v_add_f64 v[118:119], v[118:119], v[192:193]
	v_mul_f64 v[196:197], v[178:179], s[30:31]
	v_fma_f64 v[204:205], v[162:163], s[16:17], -v[200:201]
	v_add_f64 v[210:211], v[210:211], v[214:215]
	v_fma_f64 v[104:105], s[18:19], v[182:183], v[112:113]
	v_add_f64 v[106:107], v[106:107], v[118:119]
	v_mul_f64 v[192:193], v[184:185], s[22:23]
	v_fma_f64 v[118:119], v[170:171], s[24:25], -v[196:197]
	v_add_f64 v[204:205], v[204:205], v[210:211]
	v_add_f64 v[106:107], v[104:105], v[106:107]
	v_fma_f64 v[104:105], v[176:177], s[18:19], -v[192:193]
	v_add_f64 v[118:119], v[118:119], v[204:205]
	v_add_f64 v[104:105], v[104:105], v[118:119]
	v_fma_f64 v[118:119], v[156:157], s[26:27], -v[190:191]
	v_fma_f64 v[190:191], v[154:155], s[14:15], -v[194:195]
	;; [unrolled: 1-line block ×5, first 2 shown]
	v_add_f64 v[202:203], v[18:19], v[202:203]
	v_add_f64 v[198:199], v[198:199], v[202:203]
	;; [unrolled: 1-line block ×4, first 2 shown]
	v_fma_f64 v[116:117], v[166:167], s[16:17], -v[116:117]
	v_add_f64 v[118:119], v[118:119], v[190:191]
	v_fma_f64 v[114:115], v[174:175], s[24:25], -v[114:115]
	v_add_f64 v[116:117], v[116:117], v[118:119]
	;; [unrolled: 2-line block ×3, first 2 shown]
	v_fmac_f64_e32 v[228:229], s[40:41], v[126:127]
	v_add_f64 v[118:119], v[112:113], v[114:115]
	v_fmac_f64_e32 v[224:225], s[4:5], v[134:135]
	v_add_f64 v[112:113], v[16:17], v[228:229]
	;; [unrolled: 2-line block ×3, first 2 shown]
	v_mul_f64 v[214:215], v[132:133], s[36:37]
	v_fmac_f64_e32 v[212:213], s[14:15], v[148:149]
	v_add_f64 v[112:113], v[216:217], v[112:113]
	v_mul_f64 v[210:211], v[146:147], s[30:31]
	v_fma_f64 v[216:217], s[26:27], v[128:129], v[214:215]
	v_mul_f64 v[236:237], v[130:131], s[36:37]
	v_fmac_f64_e32 v[208:209], s[26:27], v[152:153]
	v_add_f64 v[112:113], v[212:213], v[112:113]
	v_mul_f64 v[206:207], v[150:151], s[12:13]
	v_fma_f64 v[212:213], s[24:25], v[138:139], v[210:211]
	v_add_f64 v[216:217], v[18:19], v[216:217]
	v_mul_f64 v[232:233], v[140:141], s[30:31]
	v_fma_f64 v[238:239], v[126:127], s[26:27], -v[236:237]
	v_fmac_f64_e32 v[200:201], s[16:17], v[162:163]
	v_add_f64 v[112:113], v[208:209], v[112:113]
	v_mul_f64 v[202:203], v[164:165], s[42:43]
	v_fma_f64 v[208:209], s[4:5], v[142:143], v[206:207]
	v_add_f64 v[212:213], v[212:213], v[216:217]
	v_mul_f64 v[228:229], v[144:145], s[12:13]
	v_fma_f64 v[234:235], v[134:135], s[24:25], -v[232:233]
	v_add_f64 v[238:239], v[16:17], v[238:239]
	v_fmac_f64_e32 v[196:197], s[24:25], v[170:171]
	v_add_f64 v[112:113], v[200:201], v[112:113]
	v_mul_f64 v[198:199], v[168:169], s[56:57]
	v_fma_f64 v[204:205], s[38:39], v[154:155], v[202:203]
	v_add_f64 v[208:209], v[208:209], v[212:213]
	v_mul_f64 v[224:225], v[158:159], s[42:43]
	v_fma_f64 v[230:231], v[136:137], s[4:5], -v[228:229]
	v_add_f64 v[234:235], v[234:235], v[238:239]
	v_fmac_f64_e32 v[192:193], s[18:19], v[176:177]
	v_add_f64 v[112:113], v[196:197], v[112:113]
	v_mul_f64 v[194:195], v[180:181], s[34:35]
	v_fma_f64 v[200:201], s[18:19], v[156:157], v[198:199]
	v_add_f64 v[204:205], v[204:205], v[208:209]
	v_mul_f64 v[216:217], v[160:161], s[56:57]
	v_fma_f64 v[226:227], v[148:149], s[38:39], -v[224:225]
	v_add_f64 v[230:231], v[230:231], v[234:235]
	v_add_f64 v[116:117], v[192:193], v[112:113]
	v_mul_f64 v[192:193], v[186:187], s[46:47]
	v_fma_f64 v[196:197], s[14:15], v[166:167], v[194:195]
	v_add_f64 v[200:201], v[200:201], v[204:205]
	v_mul_f64 v[208:209], v[172:173], s[34:35]
	v_fma_f64 v[222:223], v[152:153], s[18:19], -v[216:217]
	v_add_f64 v[226:227], v[226:227], v[230:231]
	v_mul_f64 v[190:191], v[188:189], s[2:3]
	v_fma_f64 v[114:115], s[40:41], v[174:175], v[192:193]
	v_add_f64 v[196:197], v[196:197], v[200:201]
	v_mul_f64 v[200:201], v[178:179], s[46:47]
	v_fma_f64 v[212:213], v[162:163], s[14:15], -v[208:209]
	v_add_f64 v[222:223], v[222:223], v[226:227]
	v_fma_f64 v[112:113], s[16:17], v[182:183], v[190:191]
	v_add_f64 v[114:115], v[114:115], v[196:197]
	v_mul_f64 v[196:197], v[184:185], s[2:3]
	v_fma_f64 v[204:205], v[170:171], s[40:41], -v[200:201]
	v_add_f64 v[212:213], v[212:213], v[222:223]
	v_add_f64 v[114:115], v[112:113], v[114:115]
	v_fma_f64 v[112:113], v[176:177], s[16:17], -v[196:197]
	v_add_f64 v[204:205], v[204:205], v[212:213]
	v_add_f64 v[112:113], v[112:113], v[204:205]
	v_fma_f64 v[204:205], v[142:143], s[4:5], -v[206:207]
	v_fma_f64 v[206:207], v[138:139], s[24:25], -v[210:211]
	;; [unrolled: 1-line block ×3, first 2 shown]
	v_add_f64 v[210:211], v[18:19], v[210:211]
	v_add_f64 v[206:207], v[206:207], v[210:211]
	v_fma_f64 v[202:203], v[154:155], s[38:39], -v[202:203]
	v_add_f64 v[204:205], v[204:205], v[206:207]
	v_fma_f64 v[198:199], v[156:157], s[18:19], -v[198:199]
	;; [unrolled: 2-line block ×4, first 2 shown]
	v_add_f64 v[194:195], v[194:195], v[198:199]
	v_add_f64 v[12:13], v[16:17], v[12:13]
	v_fma_f64 v[190:191], v[182:183], s[16:17], -v[190:191]
	v_add_f64 v[192:193], v[192:193], v[194:195]
	v_fmac_f64_e32 v[236:237], s[26:27], v[126:127]
	v_add_f64 v[14:15], v[18:19], v[14:15]
	v_add_f64 v[12:13], v[12:13], v[20:21]
	v_add_f64 v[192:193], v[190:191], v[192:193]
	v_fmac_f64_e32 v[232:233], s[24:25], v[134:135]
	v_add_f64 v[190:191], v[16:17], v[236:237]
	v_add_f64 v[14:15], v[14:15], v[22:23]
	;; [unrolled: 4-line block ×6, first 2 shown]
	v_add_f64 v[12:13], v[12:13], v[60:61]
	v_add_f64 v[190:191], v[208:209], v[190:191]
	v_mul_f64 v[208:209], v[132:133], s[20:21]
	v_add_f64 v[14:15], v[14:15], v[62:63]
	v_add_f64 v[12:13], v[12:13], v[68:69]
	v_mul_f64 v[146:147], v[146:147], s[36:37]
	v_fma_f64 v[132:133], s[16:17], v[128:129], v[208:209]
	v_mul_f64 v[210:211], v[130:131], s[20:21]
	v_add_f64 v[14:15], v[14:15], v[70:71]
	v_add_f64 v[12:13], v[12:13], v[72:73]
	v_mul_f64 v[150:151], v[150:151], s[54:55]
	v_fma_f64 v[206:207], s[26:27], v[138:139], v[146:147]
	v_add_f64 v[132:133], v[18:19], v[132:133]
	v_mul_f64 v[140:141], v[140:141], s[36:37]
	v_fma_f64 v[130:131], v[126:127], s[16:17], -v[210:211]
	v_fma_f64 v[128:129], v[128:129], s[16:17], -v[208:209]
	v_fmac_f64_e32 v[210:211], s[16:17], v[126:127]
	v_add_f64 v[14:15], v[14:15], v[74:75]
	v_add_f64 v[12:13], v[12:13], v[64:65]
	v_mul_f64 v[164:165], v[164:165], s[30:31]
	v_fma_f64 v[204:205], s[40:41], v[142:143], v[150:151]
	v_add_f64 v[132:133], v[206:207], v[132:133]
	v_mul_f64 v[144:145], v[144:145], s[54:55]
	v_fma_f64 v[206:207], v[134:135], s[26:27], -v[140:141]
	v_add_f64 v[130:131], v[16:17], v[130:131]
	v_fma_f64 v[138:139], v[138:139], s[26:27], -v[146:147]
	v_add_f64 v[128:129], v[18:19], v[128:129]
	v_fmac_f64_e32 v[140:141], s[26:27], v[134:135]
	v_add_f64 v[126:127], v[16:17], v[210:211]
	v_add_f64 v[14:15], v[14:15], v[66:67]
	;; [unrolled: 1-line block ×3, first 2 shown]
	v_fmac_f64_e32 v[200:201], s[40:41], v[170:171]
	v_mul_f64 v[168:169], v[168:169], s[44:45]
	v_fma_f64 v[202:203], s[24:25], v[154:155], v[164:165]
	v_add_f64 v[132:133], v[204:205], v[132:133]
	v_mul_f64 v[158:159], v[158:159], s[30:31]
	v_fma_f64 v[204:205], v[136:137], s[40:41], -v[144:145]
	v_add_f64 v[130:131], v[206:207], v[130:131]
	v_fma_f64 v[142:143], v[142:143], s[40:41], -v[150:151]
	v_add_f64 v[128:129], v[138:139], v[128:129]
	v_fmac_f64_e32 v[144:145], s[40:41], v[136:137]
	v_add_f64 v[126:127], v[140:141], v[126:127]
	v_add_f64 v[14:15], v[14:15], v[54:55]
	;; [unrolled: 1-line block ×4, first 2 shown]
	v_mul_f64 v[180:181], v[180:181], s[12:13]
	v_fma_f64 v[200:201], s[14:15], v[156:157], v[168:169]
	v_add_f64 v[132:133], v[202:203], v[132:133]
	v_mul_f64 v[160:161], v[160:161], s[44:45]
	v_fma_f64 v[202:203], v[148:149], s[24:25], -v[158:159]
	v_add_f64 v[130:131], v[204:205], v[130:131]
	v_fma_f64 v[154:155], v[154:155], s[24:25], -v[164:165]
	v_add_f64 v[128:129], v[142:143], v[128:129]
	v_fmac_f64_e32 v[158:159], s[24:25], v[148:149]
	v_add_f64 v[126:127], v[144:145], v[126:127]
	v_add_f64 v[14:15], v[14:15], v[50:51]
	;; [unrolled: 1-line block ×3, first 2 shown]
	v_fmac_f64_e32 v[196:197], s[16:17], v[176:177]
	v_mul_f64 v[186:187], v[186:187], s[22:23]
	v_fma_f64 v[198:199], s[4:5], v[166:167], v[180:181]
	v_add_f64 v[132:133], v[200:201], v[132:133]
	v_mul_f64 v[172:173], v[172:173], s[12:13]
	v_fma_f64 v[200:201], v[152:153], s[14:15], -v[160:161]
	v_add_f64 v[130:131], v[202:203], v[130:131]
	v_fma_f64 v[156:157], v[156:157], s[14:15], -v[168:169]
	v_add_f64 v[128:129], v[154:155], v[128:129]
	v_fmac_f64_e32 v[160:161], s[14:15], v[152:153]
	v_add_f64 v[126:127], v[158:159], v[126:127]
	v_add_f64 v[14:15], v[14:15], v[38:39]
	;; [unrolled: 1-line block ×4, first 2 shown]
	v_mul_f64 v[188:189], v[188:189], s[42:43]
	v_fma_f64 v[196:197], s[18:19], v[174:175], v[186:187]
	v_add_f64 v[132:133], v[198:199], v[132:133]
	v_mul_f64 v[178:179], v[178:179], s[22:23]
	v_fma_f64 v[198:199], v[162:163], s[4:5], -v[172:173]
	v_add_f64 v[130:131], v[200:201], v[130:131]
	v_fma_f64 v[166:167], v[166:167], s[4:5], -v[180:181]
	v_add_f64 v[128:129], v[156:157], v[128:129]
	v_fmac_f64_e32 v[172:173], s[4:5], v[162:163]
	v_add_f64 v[126:127], v[160:161], v[126:127]
	v_add_f64 v[14:15], v[14:15], v[34:35]
	v_add_f64 v[12:13], v[12:13], v[28:29]
	v_fma_f64 v[194:195], s[38:39], v[182:183], v[188:189]
	v_add_f64 v[132:133], v[196:197], v[132:133]
	v_mul_f64 v[184:185], v[184:185], s[42:43]
	v_fma_f64 v[196:197], v[170:171], s[18:19], -v[178:179]
	v_add_f64 v[130:131], v[198:199], v[130:131]
	v_fma_f64 v[174:175], v[174:175], s[18:19], -v[186:187]
	v_add_f64 v[128:129], v[166:167], v[128:129]
	v_fmac_f64_e32 v[178:179], s[18:19], v[170:171]
	v_add_f64 v[126:127], v[172:173], v[126:127]
	v_add_f64 v[14:15], v[14:15], v[30:31]
	;; [unrolled: 1-line block ×3, first 2 shown]
	v_mul_u32_u24_e32 v12, 0x110, v124
	v_add_f64 v[132:133], v[194:195], v[132:133]
	v_fma_f64 v[194:195], v[176:177], s[38:39], -v[184:185]
	v_add_f64 v[130:131], v[196:197], v[130:131]
	v_fma_f64 v[182:183], v[182:183], s[38:39], -v[188:189]
	v_add_f64 v[128:129], v[174:175], v[128:129]
	v_fmac_f64_e32 v[184:185], s[38:39], v[176:177]
	v_add_f64 v[126:127], v[178:179], v[126:127]
	v_add_f64 v[10:11], v[14:15], v[10:11]
	v_add3_u32 v12, 0, v12, v220
	v_add_f64 v[130:131], v[194:195], v[130:131]
	v_add_f64 v[128:129], v[182:183], v[128:129]
	;; [unrolled: 1-line block ×3, first 2 shown]
	ds_write_b128 v12, v[8:11]
	ds_write_b128 v12, v[126:129] offset:16
	ds_write_b128 v12, v[190:193] offset:32
	ds_write_b128 v12, v[116:119] offset:48
	ds_write_b128 v12, v[108:111] offset:64
	ds_write_b128 v12, v[96:99] offset:80
	ds_write_b128 v12, v[88:91] offset:96
	ds_write_b128 v12, v[84:87] offset:112
	ds_write_b128 v12, v[80:83] offset:128
	ds_write_b128 v12, v[76:79] offset:144
	ds_write_b128 v12, v[4:7] offset:160
	ds_write_b128 v12, v[0:3] offset:176
	ds_write_b128 v12, v[92:95] offset:192
	ds_write_b128 v12, v[100:103] offset:208
	ds_write_b128 v12, v[104:107] offset:224
	ds_write_b128 v12, v[112:115] offset:240
	ds_write_b128 v12, v[130:133] offset:256
.LBB0_22:
	s_or_b64 exec, exec, s[28:29]
	s_waitcnt lgkmcnt(0)
	s_barrier
	ds_read_b128 v[24:27], v219
	ds_read_b128 v[8:11], v125 offset:544
	ds_read_b128 v[28:31], v125 offset:3536
	;; [unrolled: 1-line block ×9, first 2 shown]
	s_and_saveexec_b64 s[2:3], vcc
	s_cbranch_execz .LBB0_24
; %bb.23:
	ds_read_b128 v[4:7], v125 offset:2720
	ds_read_b128 v[0:3], v125 offset:5712
.LBB0_24:
	s_or_b64 exec, exec, s[2:3]
	v_subrev_u32_e32 v48, 17, v124
	v_cndmask_b32_e32 v70, v48, v124, vcc
	v_add_u16_e32 v48, 34, v124
	s_movk_i32 s4, 0xf1
	v_mul_lo_u16_sdwa v49, v48, s4 dst_sel:DWORD dst_unused:UNUSED_PAD src0_sel:BYTE_0 src1_sel:DWORD
	v_lshrrev_b16_e32 v49, 12, v49
	v_mov_b32_e32 v71, 0
	v_mul_lo_u16_e32 v50, 17, v49
	v_lshl_add_u64 v[58:59], v[70:71], 4, s[8:9]
	v_sub_u16_e32 v50, v48, v50
	v_mov_b32_e32 v48, 4
	v_lshlrev_b32_sdwa v71, v48, v50 dst_sel:DWORD dst_unused:UNUSED_PAD src0_sel:DWORD src1_sel:BYTE_0
	global_load_dwordx4 v[50:53], v[58:59], off
	global_load_dwordx4 v[54:57], v71, s[8:9]
	v_add_u16_e32 v58, 0x44, v124
	v_mul_lo_u16_sdwa v59, v58, s4 dst_sel:DWORD dst_unused:UNUSED_PAD src0_sel:BYTE_0 src1_sel:DWORD
	v_lshrrev_b16_e32 v74, 12, v59
	v_mul_lo_u16_e32 v59, 17, v74
	v_sub_u16_e32 v58, v58, v59
	v_lshlrev_b32_sdwa v75, v48, v58 dst_sel:DWORD dst_unused:UNUSED_PAD src0_sel:DWORD src1_sel:BYTE_0
	v_add_u16_e32 v58, 0x66, v124
	v_mul_lo_u16_sdwa v59, v58, s4 dst_sel:DWORD dst_unused:UNUSED_PAD src0_sel:BYTE_0 src1_sel:DWORD
	v_lshrrev_b16_e32 v76, 12, v59
	v_add_u16_e32 v66, 0x88, v124
	v_mul_lo_u16_e32 v59, 17, v76
	v_mul_lo_u16_sdwa v67, v66, s4 dst_sel:DWORD dst_unused:UNUSED_PAD src0_sel:BYTE_0 src1_sel:DWORD
	v_sub_u16_e32 v58, v58, v59
	v_lshrrev_b16_e32 v78, 12, v67
	v_lshlrev_b32_sdwa v77, v48, v58 dst_sel:DWORD dst_unused:UNUSED_PAD src0_sel:DWORD src1_sel:BYTE_0
	global_load_dwordx4 v[58:61], v75, s[8:9]
	global_load_dwordx4 v[62:65], v77, s[8:9]
	v_mul_lo_u16_e32 v67, 17, v78
	v_sub_u16_e32 v66, v66, v67
	v_lshlrev_b32_sdwa v79, v48, v66 dst_sel:DWORD dst_unused:UNUSED_PAD src0_sel:DWORD src1_sel:BYTE_0
	global_load_dwordx4 v[66:69], v79, s[8:9]
	v_mov_b32_e32 v72, 0x220
	v_cmp_lt_u32_e64 s[2:3], 16, v124
	s_movk_i32 s5, 0x220
	v_lshlrev_b32_e32 v70, 4, v70
	v_cndmask_b32_e64 v72, 0, v72, s[2:3]
	v_add_u32_e32 v72, 0, v72
	v_mad_u32_u24 v49, v49, s5, 0
	v_add3_u32 v80, v72, v70, v220
	v_add3_u32 v49, v49, v71, v220
	s_waitcnt lgkmcnt(0)
	s_barrier
	s_waitcnt vmcnt(4)
	v_mul_f64 v[70:71], v[46:47], v[52:53]
	v_mul_f64 v[52:53], v[44:45], v[52:53]
	v_fmac_f64_e32 v[70:71], v[44:45], v[50:51]
	v_fma_f64 v[46:47], v[46:47], v[50:51], -v[52:53]
	v_add_f64 v[44:45], v[24:25], -v[70:71]
	v_add_f64 v[46:47], v[26:27], -v[46:47]
	s_waitcnt vmcnt(3)
	v_mul_f64 v[50:51], v[30:31], v[56:57]
	v_mul_f64 v[52:53], v[28:29], v[56:57]
	v_fma_f64 v[24:25], v[24:25], 2.0, -v[44:45]
	v_fma_f64 v[26:27], v[26:27], 2.0, -v[46:47]
	v_fmac_f64_e32 v[50:51], v[28:29], v[54:55]
	v_fma_f64 v[28:29], v[30:31], v[54:55], -v[52:53]
	ds_write_b128 v80, v[24:27]
	v_add_f64 v[24:25], v[8:9], -v[50:51]
	v_add_f64 v[26:27], v[10:11], -v[28:29]
	v_fma_f64 v[8:9], v[8:9], 2.0, -v[24:25]
	s_waitcnt vmcnt(2)
	v_mul_f64 v[56:57], v[34:35], v[60:61]
	v_mul_f64 v[60:61], v[32:33], v[60:61]
	v_fmac_f64_e32 v[56:57], v[32:33], v[58:59]
	v_fma_f64 v[30:31], v[34:35], v[58:59], -v[60:61]
	s_waitcnt vmcnt(1)
	v_mul_f64 v[70:71], v[42:43], v[64:65]
	v_mul_f64 v[64:65], v[40:41], v[64:65]
	ds_write_b128 v80, v[44:47] offset:272
	v_add_f64 v[28:29], v[16:17], -v[56:57]
	v_add_f64 v[30:31], v[18:19], -v[30:31]
	v_fma_f64 v[10:11], v[10:11], 2.0, -v[26:27]
	ds_write_b128 v49, v[24:27] offset:272
	ds_write_b128 v49, v[8:11]
	v_mad_u32_u24 v8, v74, s5, 0
	v_fmac_f64_e32 v[70:71], v[40:41], v[62:63]
	v_fma_f64 v[34:35], v[42:43], v[62:63], -v[64:65]
	v_fma_f64 v[16:17], v[16:17], 2.0, -v[28:29]
	v_fma_f64 v[18:19], v[18:19], 2.0, -v[30:31]
	v_add3_u32 v8, v8, v75, v220
	s_waitcnt vmcnt(0)
	v_mul_f64 v[72:73], v[38:39], v[68:69]
	v_mul_f64 v[68:69], v[36:37], v[68:69]
	v_add_f64 v[32:33], v[12:13], -v[70:71]
	v_add_f64 v[34:35], v[14:15], -v[34:35]
	ds_write_b128 v8, v[16:19]
	ds_write_b128 v8, v[28:31] offset:272
	v_mad_u32_u24 v8, v76, s5, 0
	v_fmac_f64_e32 v[72:73], v[36:37], v[66:67]
	v_fma_f64 v[38:39], v[38:39], v[66:67], -v[68:69]
	v_fma_f64 v[12:13], v[12:13], 2.0, -v[32:33]
	v_fma_f64 v[14:15], v[14:15], 2.0, -v[34:35]
	v_add3_u32 v8, v8, v77, v220
	v_add_f64 v[36:37], v[20:21], -v[72:73]
	v_add_f64 v[38:39], v[22:23], -v[38:39]
	ds_write_b128 v8, v[12:15]
	ds_write_b128 v8, v[32:35] offset:272
	v_mad_u32_u24 v8, v78, s5, 0
	v_fma_f64 v[20:21], v[20:21], 2.0, -v[36:37]
	v_fma_f64 v[22:23], v[22:23], 2.0, -v[38:39]
	v_add3_u32 v8, v8, v79, v220
	ds_write_b128 v8, v[20:23]
	ds_write_b128 v8, v[36:39] offset:272
	s_and_saveexec_b64 s[2:3], vcc
	s_cbranch_execz .LBB0_26
; %bb.25:
	v_add_u16_e32 v8, 0xaa, v124
	v_mul_lo_u16_sdwa v9, v8, s4 dst_sel:DWORD dst_unused:UNUSED_PAD src0_sel:BYTE_0 src1_sel:DWORD
	v_lshrrev_b16_e32 v9, 12, v9
	v_mul_lo_u16_e32 v9, 17, v9
	v_sub_u16_e32 v8, v8, v9
	v_lshlrev_b32_sdwa v12, v48, v8 dst_sel:DWORD dst_unused:UNUSED_PAD src0_sel:DWORD src1_sel:BYTE_0
	global_load_dwordx4 v[8:11], v12, s[8:9]
	v_add3_u32 v14, 0, v12, v220
	s_waitcnt vmcnt(0)
	v_mul_f64 v[12:13], v[0:1], v[10:11]
	v_mul_f64 v[10:11], v[2:3], v[10:11]
	v_fma_f64 v[2:3], v[2:3], v[8:9], -v[12:13]
	v_fmac_f64_e32 v[10:11], v[0:1], v[8:9]
	v_add_f64 v[2:3], v[6:7], -v[2:3]
	v_add_f64 v[0:1], v[4:5], -v[10:11]
	v_fma_f64 v[6:7], v[6:7], 2.0, -v[2:3]
	v_fma_f64 v[4:5], v[4:5], 2.0, -v[0:1]
	ds_write_b128 v14, v[4:7] offset:5440
	ds_write_b128 v14, v[0:3] offset:5712
.LBB0_26:
	s_or_b64 exec, exec, s[2:3]
	v_mul_u32_u24_e32 v0, 10, v124
	v_lshlrev_b32_e32 v4, 4, v0
	s_waitcnt lgkmcnt(0)
	s_barrier
	global_load_dwordx4 v[0:3], v4, s[8:9] offset:272
	global_load_dwordx4 v[8:11], v4, s[8:9] offset:288
	;; [unrolled: 1-line block ×10, first 2 shown]
	ds_read_b128 v[48:51], v219
	ds_read_b128 v[52:55], v125 offset:544
	ds_read_b128 v[56:59], v125 offset:1088
	;; [unrolled: 1-line block ×10, first 2 shown]
	s_mov_b32 s2, 0xf8bb580b
	s_mov_b32 s18, 0x8764f0ba
	s_mov_b32 s8, 0x8eee2c13
	s_mov_b32 s12, 0xd9c712b6
	s_mov_b32 s4, 0x43842ef
	s_mov_b32 s16, 0x640f44db
	s_mov_b32 s24, 0xbb3a28a1
	s_mov_b32 s26, 0x7f775887
	s_mov_b32 s30, 0xfd768dbf
	s_mov_b32 s34, 0x9bcd5057
	s_mov_b32 s3, 0xbfe14ced
	s_mov_b32 s19, 0x3feaeb8c
	s_mov_b32 s9, 0xbfed1bb4
	s_mov_b32 s13, 0x3fda9628
	s_mov_b32 s5, 0xbfefac9e
	s_mov_b32 s17, 0xbfc2375f
	s_mov_b32 s25, 0xbfe82f19
	s_mov_b32 s27, 0xbfe4f49e
	s_mov_b32 s31, 0xbfd207e7
	s_mov_b32 s35, 0xbfeeb42a
	s_mov_b32 s21, 0x3fe14ced
	s_mov_b32 s20, s2
	s_mov_b32 s15, 0x3fed1bb4
	s_mov_b32 s14, s8
	s_mov_b32 s23, 0x3fefac9e
	s_mov_b32 s22, s4
	s_mov_b32 s29, 0x3fe82f19
	s_mov_b32 s28, s24
	s_mov_b32 s37, 0x3fd207e7
	s_mov_b32 s36, s30
	s_waitcnt lgkmcnt(0)
	s_barrier
	s_waitcnt vmcnt(9)
	v_mul_f64 v[92:93], v[54:55], v[2:3]
	v_mul_f64 v[2:3], v[52:53], v[2:3]
	s_waitcnt vmcnt(8)
	v_mul_f64 v[94:95], v[58:59], v[10:11]
	v_mul_f64 v[10:11], v[56:57], v[10:11]
	;; [unrolled: 3-line block ×3, first 2 shown]
	v_fmac_f64_e32 v[92:93], v[52:53], v[0:1]
	v_fma_f64 v[0:1], v[54:55], v[0:1], -v[2:3]
	v_mul_f64 v[96:97], v[62:63], v[18:19]
	s_waitcnt vmcnt(0)
	v_mul_f64 v[102:103], v[90:91], v[46:47]
	v_mul_f64 v[46:47], v[88:89], v[46:47]
	;; [unrolled: 1-line block ×7, first 2 shown]
	v_fmac_f64_e32 v[94:95], v[56:57], v[8:9]
	v_fma_f64 v[52:53], v[58:59], v[8:9], -v[10:11]
	v_fmac_f64_e32 v[4:5], v[68:69], v[24:25]
	v_fma_f64 v[8:9], v[70:71], v[24:25], -v[26:27]
	v_fma_f64 v[2:3], v[90:91], v[44:45], -v[46:47]
	v_add_f64 v[24:25], v[48:49], v[92:93]
	v_add_f64 v[26:27], v[50:51], v[0:1]
	v_mul_f64 v[12:13], v[66:67], v[22:23]
	v_mul_f64 v[22:23], v[64:65], v[22:23]
	v_fma_f64 v[54:55], v[62:63], v[16:17], -v[18:19]
	v_fma_f64 v[10:11], v[74:75], v[28:29], -v[30:31]
	v_fma_f64 v[18:19], v[78:79], v[32:33], -v[34:35]
	v_add_f64 v[30:31], v[0:1], v[2:3]
	v_add_f64 v[34:35], v[0:1], -v[2:3]
	v_add_f64 v[0:1], v[24:25], v[94:95]
	v_add_f64 v[24:25], v[26:27], v[52:53]
	v_fmac_f64_e32 v[96:97], v[60:61], v[16:17]
	v_fma_f64 v[16:17], v[66:67], v[20:21], -v[22:23]
	v_add_f64 v[24:25], v[24:25], v[54:55]
	v_add_f64 v[24:25], v[24:25], v[16:17]
	;; [unrolled: 1-line block ×3, first 2 shown]
	v_mul_f64 v[98:99], v[82:83], v[38:39]
	v_mul_f64 v[38:39], v[80:81], v[38:39]
	v_add_f64 v[24:25], v[24:25], v[10:11]
	v_mul_f64 v[100:101], v[86:87], v[42:43]
	v_mul_f64 v[42:43], v[84:85], v[42:43]
	v_fmac_f64_e32 v[12:13], v[64:65], v[20:21]
	v_fma_f64 v[20:21], v[82:83], v[36:37], -v[38:39]
	v_add_f64 v[24:25], v[24:25], v[18:19]
	v_fma_f64 v[22:23], v[86:87], v[40:41], -v[42:43]
	v_fmac_f64_e32 v[102:103], v[88:89], v[44:45]
	v_add_f64 v[24:25], v[24:25], v[20:21]
	v_fmac_f64_e32 v[6:7], v[72:73], v[28:29]
	v_fmac_f64_e32 v[14:15], v[76:77], v[32:33]
	v_fmac_f64_e32 v[98:99], v[80:81], v[36:37]
	v_fmac_f64_e32 v[100:101], v[84:85], v[40:41]
	v_add_f64 v[28:29], v[92:93], v[102:103]
	v_add_f64 v[32:33], v[92:93], -v[102:103]
	v_mul_f64 v[26:27], v[34:35], s[2:3]
	v_add_f64 v[24:25], v[24:25], v[22:23]
	v_mul_f64 v[36:37], v[30:31], s[18:19]
	v_mul_f64 v[40:41], v[34:35], s[8:9]
	v_mul_f64 v[44:45], v[30:31], s[12:13]
	v_mul_f64 v[56:57], v[34:35], s[4:5]
	v_mul_f64 v[60:61], v[30:31], s[16:17]
	v_mul_f64 v[64:65], v[34:35], s[24:25]
	v_mul_f64 v[68:69], v[30:31], s[26:27]
	v_mul_f64 v[34:35], v[34:35], s[30:31]
	v_mul_f64 v[30:31], v[30:31], s[34:35]
	v_add_f64 v[2:3], v[24:25], v[2:3]
	v_fma_f64 v[24:25], s[18:19], v[28:29], v[26:27]
	v_fma_f64 v[38:39], s[20:21], v[32:33], v[36:37]
	v_fma_f64 v[26:27], v[28:29], s[18:19], -v[26:27]
	v_fmac_f64_e32 v[36:37], s[2:3], v[32:33]
	v_fma_f64 v[42:43], s[12:13], v[28:29], v[40:41]
	v_fma_f64 v[46:47], s[14:15], v[32:33], v[44:45]
	v_fma_f64 v[40:41], v[28:29], s[12:13], -v[40:41]
	v_fmac_f64_e32 v[44:45], s[8:9], v[32:33]
	;; [unrolled: 4-line block ×5, first 2 shown]
	v_add_f64 v[34:35], v[52:53], v[22:23]
	v_add_f64 v[22:23], v[52:53], -v[22:23]
	v_add_f64 v[38:39], v[50:51], v[38:39]
	v_add_f64 v[36:37], v[50:51], v[36:37]
	;; [unrolled: 1-line block ×11, first 2 shown]
	v_mul_f64 v[50:51], v[22:23], s[8:9]
	v_add_f64 v[24:25], v[48:49], v[24:25]
	v_fma_f64 v[52:53], s[12:13], v[32:33], v[50:51]
	v_add_f64 v[26:27], v[48:49], v[26:27]
	v_add_f64 v[42:43], v[48:49], v[42:43]
	v_add_f64 v[40:41], v[48:49], v[40:41]
	v_add_f64 v[58:59], v[48:49], v[58:59]
	v_add_f64 v[56:57], v[48:49], v[56:57]
	v_add_f64 v[66:67], v[48:49], v[66:67]
	v_add_f64 v[64:65], v[48:49], v[64:65]
	v_add_f64 v[72:73], v[48:49], v[72:73]
	v_add_f64 v[28:29], v[48:49], v[28:29]
	v_add_f64 v[48:49], v[94:95], -v[100:101]
	v_add_f64 v[24:25], v[52:53], v[24:25]
	v_mul_f64 v[52:53], v[34:35], s[12:13]
	v_fma_f64 v[50:51], v[32:33], s[12:13], -v[50:51]
	v_fma_f64 v[76:77], s[14:15], v[48:49], v[52:53]
	v_add_f64 v[26:27], v[50:51], v[26:27]
	v_fmac_f64_e32 v[52:53], s[8:9], v[48:49]
	v_mul_f64 v[50:51], v[22:23], s[24:25]
	v_add_f64 v[36:37], v[52:53], v[36:37]
	v_fma_f64 v[52:53], s[26:27], v[32:33], v[50:51]
	v_add_f64 v[42:43], v[52:53], v[42:43]
	v_mul_f64 v[52:53], v[34:35], s[26:27]
	v_fma_f64 v[50:51], v[32:33], s[26:27], -v[50:51]
	v_add_f64 v[38:39], v[76:77], v[38:39]
	v_fma_f64 v[76:77], s[28:29], v[48:49], v[52:53]
	v_add_f64 v[40:41], v[50:51], v[40:41]
	v_fmac_f64_e32 v[52:53], s[24:25], v[48:49]
	v_mul_f64 v[50:51], v[22:23], s[36:37]
	v_add_f64 v[44:45], v[52:53], v[44:45]
	v_fma_f64 v[52:53], s[34:35], v[32:33], v[50:51]
	v_add_f64 v[52:53], v[52:53], v[58:59]
	v_mul_f64 v[58:59], v[34:35], s[34:35]
	v_add_f64 v[46:47], v[76:77], v[46:47]
	v_fma_f64 v[76:77], s[30:31], v[48:49], v[58:59]
	v_fma_f64 v[50:51], v[32:33], s[34:35], -v[50:51]
	v_fmac_f64_e32 v[58:59], s[36:37], v[48:49]
	v_add_f64 v[50:51], v[50:51], v[56:57]
	v_add_f64 v[56:57], v[58:59], v[60:61]
	v_mul_f64 v[58:59], v[22:23], s[22:23]
	v_fma_f64 v[60:61], s[16:17], v[32:33], v[58:59]
	v_add_f64 v[60:61], v[60:61], v[66:67]
	v_mul_f64 v[66:67], v[34:35], s[16:17]
	v_add_f64 v[62:63], v[76:77], v[62:63]
	v_fma_f64 v[76:77], s[4:5], v[48:49], v[66:67]
	v_fma_f64 v[58:59], v[32:33], s[16:17], -v[58:59]
	v_fmac_f64_e32 v[66:67], s[22:23], v[48:49]
	v_mul_f64 v[22:23], v[22:23], s[20:21]
	v_mul_f64 v[34:35], v[34:35], s[18:19]
	v_add_f64 v[58:59], v[58:59], v[64:65]
	v_add_f64 v[64:65], v[66:67], v[68:69]
	v_fma_f64 v[66:67], s[18:19], v[32:33], v[22:23]
	v_fma_f64 v[68:69], s[2:3], v[48:49], v[34:35]
	v_fma_f64 v[22:23], v[32:33], s[18:19], -v[22:23]
	v_fmac_f64_e32 v[34:35], s[20:21], v[48:49]
	v_add_f64 v[32:33], v[54:55], v[20:21]
	v_add_f64 v[20:21], v[54:55], -v[20:21]
	v_add_f64 v[22:23], v[22:23], v[28:29]
	v_add_f64 v[28:29], v[34:35], v[30:31]
	;; [unrolled: 1-line block ×3, first 2 shown]
	v_mul_f64 v[48:49], v[20:21], s[4:5]
	v_fma_f64 v[54:55], s[16:17], v[30:31], v[48:49]
	v_add_f64 v[34:35], v[96:97], -v[98:99]
	v_add_f64 v[24:25], v[54:55], v[24:25]
	v_mul_f64 v[54:55], v[32:33], s[16:17]
	v_fma_f64 v[48:49], v[30:31], s[16:17], -v[48:49]
	v_add_f64 v[66:67], v[66:67], v[72:73]
	v_fma_f64 v[72:73], s[22:23], v[34:35], v[54:55]
	v_add_f64 v[26:27], v[48:49], v[26:27]
	v_fmac_f64_e32 v[54:55], s[4:5], v[34:35]
	v_mul_f64 v[48:49], v[20:21], s[36:37]
	v_add_f64 v[36:37], v[54:55], v[36:37]
	v_fma_f64 v[54:55], s[34:35], v[30:31], v[48:49]
	v_add_f64 v[42:43], v[54:55], v[42:43]
	v_mul_f64 v[54:55], v[32:33], s[34:35]
	v_fma_f64 v[48:49], v[30:31], s[34:35], -v[48:49]
	v_add_f64 v[38:39], v[72:73], v[38:39]
	v_fma_f64 v[72:73], s[30:31], v[34:35], v[54:55]
	v_add_f64 v[40:41], v[48:49], v[40:41]
	v_fmac_f64_e32 v[54:55], s[36:37], v[34:35]
	v_mul_f64 v[48:49], v[20:21], s[14:15]
	v_add_f64 v[44:45], v[54:55], v[44:45]
	v_fma_f64 v[54:55], s[12:13], v[30:31], v[48:49]
	v_add_f64 v[52:53], v[54:55], v[52:53]
	v_mul_f64 v[54:55], v[32:33], s[12:13]
	v_add_f64 v[46:47], v[72:73], v[46:47]
	v_fma_f64 v[72:73], s[8:9], v[34:35], v[54:55]
	v_fma_f64 v[48:49], v[30:31], s[12:13], -v[48:49]
	v_fmac_f64_e32 v[54:55], s[14:15], v[34:35]
	v_add_f64 v[48:49], v[48:49], v[50:51]
	v_add_f64 v[50:51], v[54:55], v[56:57]
	v_mul_f64 v[54:55], v[20:21], s[2:3]
	v_add_f64 v[0:1], v[0:1], v[96:97]
	v_fma_f64 v[56:57], s[18:19], v[30:31], v[54:55]
	v_add_f64 v[0:1], v[0:1], v[12:13]
	v_add_f64 v[56:57], v[56:57], v[60:61]
	v_mul_f64 v[60:61], v[32:33], s[18:19]
	v_add_f64 v[0:1], v[0:1], v[4:5]
	v_add_f64 v[62:63], v[72:73], v[62:63]
	v_fma_f64 v[72:73], s[20:21], v[34:35], v[60:61]
	v_fma_f64 v[54:55], v[30:31], s[18:19], -v[54:55]
	v_fmac_f64_e32 v[60:61], s[2:3], v[34:35]
	v_mul_f64 v[20:21], v[20:21], s[24:25]
	v_mul_f64 v[32:33], v[32:33], s[26:27]
	v_add_f64 v[0:1], v[0:1], v[6:7]
	v_add_f64 v[54:55], v[54:55], v[58:59]
	;; [unrolled: 1-line block ×3, first 2 shown]
	v_fma_f64 v[60:61], s[26:27], v[30:31], v[20:21]
	v_fma_f64 v[64:65], s[28:29], v[34:35], v[32:33]
	v_fma_f64 v[20:21], v[30:31], s[26:27], -v[20:21]
	v_fmac_f64_e32 v[32:33], s[24:25], v[34:35]
	v_add_f64 v[0:1], v[0:1], v[14:15]
	v_add_f64 v[20:21], v[20:21], v[22:23]
	;; [unrolled: 1-line block ×4, first 2 shown]
	v_add_f64 v[12:13], v[12:13], -v[14:15]
	v_add_f64 v[14:15], v[16:17], -v[18:19]
	v_add_f64 v[30:31], v[16:17], v[18:19]
	v_mul_f64 v[16:17], v[14:15], s[24:25]
	v_fma_f64 v[18:19], s[26:27], v[28:29], v[16:17]
	v_add_f64 v[18:19], v[18:19], v[24:25]
	v_mul_f64 v[24:25], v[30:31], s[26:27]
	v_fma_f64 v[16:17], v[28:29], s[26:27], -v[16:17]
	v_fma_f64 v[32:33], s[28:29], v[12:13], v[24:25]
	v_add_f64 v[16:17], v[16:17], v[26:27]
	v_fmac_f64_e32 v[24:25], s[24:25], v[12:13]
	v_mul_f64 v[26:27], v[14:15], s[22:23]
	v_add_f64 v[24:25], v[24:25], v[36:37]
	v_fma_f64 v[34:35], s[16:17], v[28:29], v[26:27]
	v_mul_f64 v[36:37], v[30:31], s[16:17]
	v_fma_f64 v[26:27], v[28:29], s[16:17], -v[26:27]
	v_add_f64 v[32:33], v[32:33], v[38:39]
	v_fma_f64 v[38:39], s[4:5], v[12:13], v[36:37]
	v_add_f64 v[26:27], v[26:27], v[40:41]
	v_fmac_f64_e32 v[36:37], s[22:23], v[12:13]
	v_mul_f64 v[40:41], v[14:15], s[2:3]
	v_add_f64 v[34:35], v[34:35], v[42:43]
	v_add_f64 v[36:37], v[36:37], v[44:45]
	v_fma_f64 v[42:43], s[18:19], v[28:29], v[40:41]
	v_mul_f64 v[44:45], v[30:31], s[18:19]
	v_fma_f64 v[40:41], v[28:29], s[18:19], -v[40:41]
	v_add_f64 v[38:39], v[38:39], v[46:47]
	v_fma_f64 v[46:47], s[20:21], v[12:13], v[44:45]
	v_add_f64 v[40:41], v[40:41], v[48:49]
	v_fmac_f64_e32 v[44:45], s[2:3], v[12:13]
	v_mul_f64 v[48:49], v[14:15], s[30:31]
	v_add_f64 v[70:71], v[76:77], v[70:71]
	v_add_f64 v[42:43], v[42:43], v[52:53]
	;; [unrolled: 1-line block ×3, first 2 shown]
	v_fma_f64 v[50:51], s[34:35], v[28:29], v[48:49]
	v_mul_f64 v[52:53], v[30:31], s[34:35]
	v_add_f64 v[68:69], v[68:69], v[74:75]
	v_add_f64 v[70:71], v[72:73], v[70:71]
	;; [unrolled: 1-line block ×3, first 2 shown]
	v_fma_f64 v[56:57], s[36:37], v[12:13], v[52:53]
	v_fmac_f64_e32 v[52:53], s[30:31], v[12:13]
	v_mul_f64 v[30:31], v[30:31], s[12:13]
	v_add_f64 v[60:61], v[60:61], v[66:67]
	v_add_f64 v[64:65], v[64:65], v[68:69]
	;; [unrolled: 1-line block ×4, first 2 shown]
	v_fma_f64 v[58:59], s[8:9], v[12:13], v[30:31]
	v_add_f64 v[66:67], v[8:9], v[10:11]
	v_add_f64 v[70:71], v[8:9], -v[10:11]
	v_add_f64 v[58:59], v[58:59], v[64:65]
	v_add_f64 v[64:65], v[4:5], v[6:7]
	v_add_f64 v[68:69], v[4:5], -v[6:7]
	v_mul_f64 v[8:9], v[70:71], s[30:31]
	v_mul_f64 v[10:11], v[66:67], s[34:35]
	v_fma_f64 v[48:49], v[28:29], s[34:35], -v[48:49]
	v_mul_f64 v[14:15], v[14:15], s[14:15]
	v_fma_f64 v[4:5], s[34:35], v[64:65], v[8:9]
	v_fma_f64 v[6:7], s[36:37], v[68:69], v[10:11]
	v_fma_f64 v[8:9], v[64:65], s[34:35], -v[8:9]
	v_fmac_f64_e32 v[10:11], s[30:31], v[68:69]
	v_add_f64 v[48:49], v[48:49], v[54:55]
	v_fma_f64 v[54:55], s[12:13], v[28:29], v[14:15]
	v_fma_f64 v[14:15], v[28:29], s[12:13], -v[14:15]
	v_add_f64 v[8:9], v[8:9], v[16:17]
	v_add_f64 v[10:11], v[10:11], v[24:25]
	v_mul_f64 v[16:17], v[70:71], s[20:21]
	v_mul_f64 v[24:25], v[70:71], s[24:25]
	v_add_f64 v[0:1], v[0:1], v[98:99]
	v_add_f64 v[54:55], v[54:55], v[60:61]
	;; [unrolled: 1-line block ×3, first 2 shown]
	v_fmac_f64_e32 v[30:31], s[14:15], v[12:13]
	v_add_f64 v[4:5], v[4:5], v[18:19]
	v_fma_f64 v[12:13], s[18:19], v[64:65], v[16:17]
	v_mul_f64 v[18:19], v[66:67], s[18:19]
	v_fma_f64 v[16:17], v[64:65], s[18:19], -v[16:17]
	v_fma_f64 v[20:21], s[26:27], v[64:65], v[24:25]
	v_fma_f64 v[24:25], v[64:65], s[26:27], -v[24:25]
	v_add_f64 v[0:1], v[0:1], v[100:101]
	v_add_f64 v[6:7], v[6:7], v[32:33]
	;; [unrolled: 1-line block ×3, first 2 shown]
	v_fma_f64 v[14:15], s[2:3], v[68:69], v[18:19]
	v_add_f64 v[16:17], v[16:17], v[26:27]
	v_fmac_f64_e32 v[18:19], s[20:21], v[68:69]
	v_add_f64 v[20:21], v[20:21], v[42:43]
	v_mul_f64 v[26:27], v[66:67], s[26:27]
	v_add_f64 v[24:25], v[24:25], v[40:41]
	v_mul_f64 v[32:33], v[70:71], s[14:15]
	v_mul_f64 v[34:35], v[66:67], s[12:13]
	;; [unrolled: 1-line block ×4, first 2 shown]
	v_add_f64 v[0:1], v[0:1], v[102:103]
	v_add_f64 v[46:47], v[46:47], v[62:63]
	;; [unrolled: 1-line block ×5, first 2 shown]
	v_fma_f64 v[22:23], s[28:29], v[68:69], v[26:27]
	v_fmac_f64_e32 v[26:27], s[24:25], v[68:69]
	v_fma_f64 v[28:29], s[12:13], v[64:65], v[32:33]
	v_fma_f64 v[30:31], s[8:9], v[68:69], v[34:35]
	v_fma_f64 v[32:33], v[64:65], s[12:13], -v[32:33]
	v_fmac_f64_e32 v[34:35], s[14:15], v[68:69]
	v_fma_f64 v[36:37], s[16:17], v[64:65], v[40:41]
	v_fma_f64 v[38:39], s[22:23], v[68:69], v[42:43]
	v_fma_f64 v[40:41], v[64:65], s[16:17], -v[40:41]
	v_fmac_f64_e32 v[42:43], s[4:5], v[68:69]
	v_add_f64 v[22:23], v[22:23], v[46:47]
	v_add_f64 v[26:27], v[26:27], v[44:45]
	;; [unrolled: 1-line block ×10, first 2 shown]
	ds_write_b128 v125, v[0:3]
	ds_write_b128 v125, v[4:7] offset:544
	ds_write_b128 v125, v[12:15] offset:1088
	;; [unrolled: 1-line block ×10, first 2 shown]
	s_waitcnt lgkmcnt(0)
	s_barrier
	s_and_saveexec_b64 s[2:3], s[0:1]
	s_cbranch_execz .LBB0_28
; %bb.27:
	v_mul_lo_u32 v0, s11, v122
	v_mul_lo_u32 v1, s10, v123
	v_mad_u64_u32 v[4:5], s[0:1], s10, v122, 0
	v_lshl_add_u32 v12, v124, 4, v218
	v_add3_u32 v5, v5, v1, v0
	ds_read_b128 v[0:3], v12
	v_lshl_add_u64 v[4:5], v[4:5], 4, s[6:7]
	v_lshl_add_u64 v[8:9], v[120:121], 4, v[4:5]
	ds_read_b128 v[4:7], v12 offset:544
	v_mov_b32_e32 v125, 0
	v_lshl_add_u64 v[10:11], v[124:125], 4, v[8:9]
	s_waitcnt lgkmcnt(1)
	global_store_dwordx4 v[10:11], v[0:3], off
	s_nop 1
	v_add_u32_e32 v0, 34, v124
	v_mov_b32_e32 v1, v125
	v_lshl_add_u64 v[0:1], v[0:1], 4, v[8:9]
	s_waitcnt lgkmcnt(0)
	global_store_dwordx4 v[0:1], v[4:7], off
	ds_read_b128 v[0:3], v12 offset:1088
	s_nop 0
	v_add_u32_e32 v4, 0x44, v124
	v_mov_b32_e32 v5, v125
	v_lshl_add_u64 v[10:11], v[4:5], 4, v[8:9]
	ds_read_b128 v[4:7], v12 offset:1632
	s_waitcnt lgkmcnt(1)
	global_store_dwordx4 v[10:11], v[0:3], off
	s_nop 1
	v_add_u32_e32 v0, 0x66, v124
	v_mov_b32_e32 v1, v125
	v_lshl_add_u64 v[0:1], v[0:1], 4, v[8:9]
	s_waitcnt lgkmcnt(0)
	global_store_dwordx4 v[0:1], v[4:7], off
	ds_read_b128 v[0:3], v12 offset:2176
	s_nop 0
	v_add_u32_e32 v4, 0x88, v124
	v_mov_b32_e32 v5, v125
	v_lshl_add_u64 v[10:11], v[4:5], 4, v[8:9]
	ds_read_b128 v[4:7], v12 offset:2720
	;; [unrolled: 14-line block ×4, first 2 shown]
	s_waitcnt lgkmcnt(1)
	global_store_dwordx4 v[10:11], v[0:3], off
	ds_read_b128 v[0:3], v12 offset:5440
	v_add_u32_e32 v10, 0x132, v124
	v_mov_b32_e32 v11, v125
	v_lshl_add_u64 v[10:11], v[10:11], 4, v[8:9]
	v_add_u32_e32 v124, 0x154, v124
	s_waitcnt lgkmcnt(1)
	global_store_dwordx4 v[10:11], v[4:7], off
	s_nop 1
	v_lshl_add_u64 v[4:5], v[124:125], 4, v[8:9]
	s_waitcnt lgkmcnt(0)
	global_store_dwordx4 v[4:5], v[0:3], off
.LBB0_28:
	s_endpgm
	.section	.rodata,"a",@progbits
	.p2align	6, 0x0
	.amdhsa_kernel fft_rtc_back_len374_factors_17_2_11_wgs_238_tpt_34_halfLds_dp_op_CI_CI_unitstride_sbrr_C2R_dirReg
		.amdhsa_group_segment_fixed_size 0
		.amdhsa_private_segment_fixed_size 0
		.amdhsa_kernarg_size 104
		.amdhsa_user_sgpr_count 2
		.amdhsa_user_sgpr_dispatch_ptr 0
		.amdhsa_user_sgpr_queue_ptr 0
		.amdhsa_user_sgpr_kernarg_segment_ptr 1
		.amdhsa_user_sgpr_dispatch_id 0
		.amdhsa_user_sgpr_kernarg_preload_length 0
		.amdhsa_user_sgpr_kernarg_preload_offset 0
		.amdhsa_user_sgpr_private_segment_size 0
		.amdhsa_uses_dynamic_stack 0
		.amdhsa_enable_private_segment 0
		.amdhsa_system_sgpr_workgroup_id_x 1
		.amdhsa_system_sgpr_workgroup_id_y 0
		.amdhsa_system_sgpr_workgroup_id_z 0
		.amdhsa_system_sgpr_workgroup_info 0
		.amdhsa_system_vgpr_workitem_id 0
		.amdhsa_next_free_vgpr 254
		.amdhsa_next_free_sgpr 58
		.amdhsa_accum_offset 256
		.amdhsa_reserve_vcc 1
		.amdhsa_float_round_mode_32 0
		.amdhsa_float_round_mode_16_64 0
		.amdhsa_float_denorm_mode_32 3
		.amdhsa_float_denorm_mode_16_64 3
		.amdhsa_dx10_clamp 1
		.amdhsa_ieee_mode 1
		.amdhsa_fp16_overflow 0
		.amdhsa_tg_split 0
		.amdhsa_exception_fp_ieee_invalid_op 0
		.amdhsa_exception_fp_denorm_src 0
		.amdhsa_exception_fp_ieee_div_zero 0
		.amdhsa_exception_fp_ieee_overflow 0
		.amdhsa_exception_fp_ieee_underflow 0
		.amdhsa_exception_fp_ieee_inexact 0
		.amdhsa_exception_int_div_zero 0
	.end_amdhsa_kernel
	.text
.Lfunc_end0:
	.size	fft_rtc_back_len374_factors_17_2_11_wgs_238_tpt_34_halfLds_dp_op_CI_CI_unitstride_sbrr_C2R_dirReg, .Lfunc_end0-fft_rtc_back_len374_factors_17_2_11_wgs_238_tpt_34_halfLds_dp_op_CI_CI_unitstride_sbrr_C2R_dirReg
                                        ; -- End function
	.section	.AMDGPU.csdata,"",@progbits
; Kernel info:
; codeLenInByte = 13632
; NumSgprs: 64
; NumVgprs: 254
; NumAgprs: 0
; TotalNumVgprs: 254
; ScratchSize: 0
; MemoryBound: 0
; FloatMode: 240
; IeeeMode: 1
; LDSByteSize: 0 bytes/workgroup (compile time only)
; SGPRBlocks: 7
; VGPRBlocks: 31
; NumSGPRsForWavesPerEU: 64
; NumVGPRsForWavesPerEU: 254
; AccumOffset: 256
; Occupancy: 2
; WaveLimiterHint : 1
; COMPUTE_PGM_RSRC2:SCRATCH_EN: 0
; COMPUTE_PGM_RSRC2:USER_SGPR: 2
; COMPUTE_PGM_RSRC2:TRAP_HANDLER: 0
; COMPUTE_PGM_RSRC2:TGID_X_EN: 1
; COMPUTE_PGM_RSRC2:TGID_Y_EN: 0
; COMPUTE_PGM_RSRC2:TGID_Z_EN: 0
; COMPUTE_PGM_RSRC2:TIDIG_COMP_CNT: 0
; COMPUTE_PGM_RSRC3_GFX90A:ACCUM_OFFSET: 63
; COMPUTE_PGM_RSRC3_GFX90A:TG_SPLIT: 0
	.text
	.p2alignl 6, 3212836864
	.fill 256, 4, 3212836864
	.type	__hip_cuid_59399aa2887e6df7,@object ; @__hip_cuid_59399aa2887e6df7
	.section	.bss,"aw",@nobits
	.globl	__hip_cuid_59399aa2887e6df7
__hip_cuid_59399aa2887e6df7:
	.byte	0                               ; 0x0
	.size	__hip_cuid_59399aa2887e6df7, 1

	.ident	"AMD clang version 19.0.0git (https://github.com/RadeonOpenCompute/llvm-project roc-6.4.0 25133 c7fe45cf4b819c5991fe208aaa96edf142730f1d)"
	.section	".note.GNU-stack","",@progbits
	.addrsig
	.addrsig_sym __hip_cuid_59399aa2887e6df7
	.amdgpu_metadata
---
amdhsa.kernels:
  - .agpr_count:     0
    .args:
      - .actual_access:  read_only
        .address_space:  global
        .offset:         0
        .size:           8
        .value_kind:     global_buffer
      - .offset:         8
        .size:           8
        .value_kind:     by_value
      - .actual_access:  read_only
        .address_space:  global
        .offset:         16
        .size:           8
        .value_kind:     global_buffer
      - .actual_access:  read_only
        .address_space:  global
        .offset:         24
        .size:           8
        .value_kind:     global_buffer
      - .actual_access:  read_only
        .address_space:  global
        .offset:         32
        .size:           8
        .value_kind:     global_buffer
      - .offset:         40
        .size:           8
        .value_kind:     by_value
      - .actual_access:  read_only
        .address_space:  global
        .offset:         48
        .size:           8
        .value_kind:     global_buffer
      - .actual_access:  read_only
        .address_space:  global
        .offset:         56
        .size:           8
        .value_kind:     global_buffer
      - .offset:         64
        .size:           4
        .value_kind:     by_value
      - .actual_access:  read_only
        .address_space:  global
        .offset:         72
        .size:           8
        .value_kind:     global_buffer
      - .actual_access:  read_only
        .address_space:  global
        .offset:         80
        .size:           8
        .value_kind:     global_buffer
      - .actual_access:  read_only
        .address_space:  global
        .offset:         88
        .size:           8
        .value_kind:     global_buffer
      - .actual_access:  write_only
        .address_space:  global
        .offset:         96
        .size:           8
        .value_kind:     global_buffer
    .group_segment_fixed_size: 0
    .kernarg_segment_align: 8
    .kernarg_segment_size: 104
    .language:       OpenCL C
    .language_version:
      - 2
      - 0
    .max_flat_workgroup_size: 238
    .name:           fft_rtc_back_len374_factors_17_2_11_wgs_238_tpt_34_halfLds_dp_op_CI_CI_unitstride_sbrr_C2R_dirReg
    .private_segment_fixed_size: 0
    .sgpr_count:     64
    .sgpr_spill_count: 0
    .symbol:         fft_rtc_back_len374_factors_17_2_11_wgs_238_tpt_34_halfLds_dp_op_CI_CI_unitstride_sbrr_C2R_dirReg.kd
    .uniform_work_group_size: 1
    .uses_dynamic_stack: false
    .vgpr_count:     254
    .vgpr_spill_count: 0
    .wavefront_size: 64
amdhsa.target:   amdgcn-amd-amdhsa--gfx950
amdhsa.version:
  - 1
  - 2
...

	.end_amdgpu_metadata
